;; amdgpu-corpus repo=zjin-lcf/HeCBench kind=compiled arch=gfx1100 opt=O3
	.text
	.amdgcn_target "amdgcn-amd-amdhsa--gfx1100"
	.amdhsa_code_object_version 6
	.protected	_Z17intt_3_64k_modcrtPjPKm ; -- Begin function _Z17intt_3_64k_modcrtPjPKm
	.globl	_Z17intt_3_64k_modcrtPjPKm
	.p2align	8
	.type	_Z17intt_3_64k_modcrtPjPKm,@function
_Z17intt_3_64k_modcrtPjPKm:             ; @_Z17intt_3_64k_modcrtPjPKm
; %bb.0:
	v_dual_mov_b32 v2, 0 :: v_dual_lshlrev_b32 v27, 3, v0
	s_load_b64 s[2:3], s[0:1], 0x8
	v_and_b32_e32 v25, 1, v0
	s_lshl_b32 s12, s15, 9
	s_delay_alu instid0(VALU_DEP_2) | instskip(SKIP_3) | instid1(VALU_DEP_1)
	v_and_b32_e32 v1, 0x1f0, v27
	s_mov_b64 s[4:5], 0xffffffff
	s_mov_b32 s6, 1
	s_mov_b32 s7, -1
	v_or3_b32 v1, v25, v1, s12
	s_delay_alu instid0(VALU_DEP_1) | instskip(SKIP_1) | instid1(VALU_DEP_1)
	v_lshlrev_b64 v[1:2], 3, v[1:2]
	s_waitcnt lgkmcnt(0)
	v_add_co_u32 v3, vcc_lo, s2, v1
	s_delay_alu instid0(VALU_DEP_2)
	v_add_co_ci_u32_e32 v4, vcc_lo, s3, v2, vcc_lo
	s_clause 0x7
	global_load_b64 v[19:20], v[3:4], off offset:48
	global_load_b64 v[17:18], v[3:4], off offset:112
	;; [unrolled: 1-line block ×4, first 2 shown]
	global_load_b64 v[7:8], v[3:4], off
	global_load_b64 v[13:14], v[3:4], off offset:32
	global_load_b64 v[5:6], v[3:4], off offset:64
	;; [unrolled: 1-line block ×3, first 2 shown]
	s_waitcnt vmcnt(6)
	v_sub_co_u32 v3, vcc_lo, v19, v17
	v_sub_co_ci_u32_e32 v4, vcc_lo, v20, v18, vcc_lo
	s_delay_alu instid0(VALU_DEP_2) | instskip(NEXT) | instid1(VALU_DEP_2)
	v_add_co_u32 v11, vcc_lo, v3, 1
	v_add_co_ci_u32_e32 v12, vcc_lo, -1, v4, vcc_lo
	v_cmp_lt_u64_e32 vcc_lo, v[19:20], v[17:18]
	s_delay_alu instid0(VALU_DEP_2) | instskip(NEXT) | instid1(VALU_DEP_1)
	v_dual_cndmask_b32 v12, v4, v12 :: v_dual_cndmask_b32 v3, v3, v11
	v_alignbit_b32 v11, v12, v3, 16
	v_lshlrev_b32_e32 v3, 16, v3
	v_lshrrev_b32_e32 v12, 16, v12
	s_delay_alu instid0(VALU_DEP_3) | instskip(NEXT) | instid1(VALU_DEP_3)
	v_cmp_eq_u32_e32 vcc_lo, 0, v11
	v_add_co_u32 v3, s2, v11, v3
	s_delay_alu instid0(VALU_DEP_1) | instskip(NEXT) | instid1(VALU_DEP_2)
	v_add_co_ci_u32_e64 v4, null, 0, 0, s2
	v_cmp_ne_u32_e64 s2, 0, v3
	s_delay_alu instid0(VALU_DEP_2) | instskip(SKIP_2) | instid1(VALU_DEP_4)
	v_cmp_lt_u64_e64 s3, s[4:5], v[3:4]
	v_sub_nc_u32_e32 v4, 0, v11
	v_not_b32_e32 v11, v11
	s_or_b32 s2, vcc_lo, s2
	s_delay_alu instid0(SALU_CYCLE_1) | instskip(NEXT) | instid1(VALU_DEP_1)
	v_cndmask_b32_e64 v21, -1, v3, s2
	v_add_nc_u32_e32 v22, 1, v21
	s_delay_alu instid0(VALU_DEP_1) | instskip(SKIP_2) | instid1(VALU_DEP_2)
	v_cndmask_b32_e32 v3, v22, v3, vcc_lo
	s_and_b32 vcc_lo, s2, s3
	v_cndmask_b32_e32 v4, v4, v11, vcc_lo
	v_cndmask_b32_e32 v3, v21, v3, vcc_lo
	s_delay_alu instid0(VALU_DEP_2) | instskip(SKIP_1) | instid1(VALU_DEP_3)
	v_sub_nc_u32_e32 v11, v4, v12
	v_cmp_lt_u32_e32 vcc_lo, v4, v12
	v_cmp_eq_u32_e64 s2, 0, v3
	s_delay_alu instid0(VALU_DEP_3) | instskip(NEXT) | instid1(VALU_DEP_1)
	v_add_co_u32 v4, s3, v11, 1
	v_cndmask_b32_e64 v12, -2, -1, s3
	s_waitcnt vmcnt(4)
	v_sub_co_u32 v21, s3, v15, v1
	s_delay_alu instid0(VALU_DEP_1)
	v_sub_co_ci_u32_e64 v22, s3, v16, v2, s3
	s_and_b32 vcc_lo, vcc_lo, s2
	v_cndmask_b32_e32 v12, v3, v12, vcc_lo
	v_cndmask_b32_e32 v11, v11, v4, vcc_lo
	v_add_co_u32 v3, vcc_lo, v21, 1
	v_add_co_ci_u32_e32 v4, vcc_lo, -1, v22, vcc_lo
	v_cmp_lt_u64_e32 vcc_lo, v[15:16], v[1:2]
	s_delay_alu instid0(VALU_DEP_4) | instskip(NEXT) | instid1(VALU_DEP_4)
	v_add_co_u32 v23, s2, v11, -1
	v_cndmask_b32_e32 v3, v21, v3, vcc_lo
	v_add_co_ci_u32_e64 v24, s2, 0, v12, s2
	v_cmp_lt_u64_e64 s2, s[6:7], v[11:12]
	v_cndmask_b32_e32 v4, v22, v4, vcc_lo
	s_mov_b32 s6, 0
	s_delay_alu instid0(VALU_DEP_2) | instskip(SKIP_1) | instid1(VALU_DEP_2)
	v_cndmask_b32_e64 v21, v11, v23, s2
	v_cndmask_b32_e64 v22, v12, v24, s2
	v_add_co_u32 v11, vcc_lo, v21, v3
	s_delay_alu instid0(VALU_DEP_2) | instskip(NEXT) | instid1(VALU_DEP_2)
	v_add_co_ci_u32_e32 v12, vcc_lo, v22, v4, vcc_lo
	v_add_co_u32 v23, vcc_lo, v11, -1
	s_delay_alu instid0(VALU_DEP_2) | instskip(SKIP_1) | instid1(VALU_DEP_2)
	v_add_co_ci_u32_e32 v24, vcc_lo, 0, v12, vcc_lo
	v_cmp_lt_u64_e32 vcc_lo, v[11:12], v[21:22]
	v_dual_cndmask_b32 v11, v11, v23 :: v_dual_cndmask_b32 v12, v12, v24
	s_delay_alu instid0(VALU_DEP_1) | instskip(NEXT) | instid1(VALU_DEP_2)
	v_add_co_u32 v23, vcc_lo, v11, -1
	v_add_co_ci_u32_e32 v24, vcc_lo, 0, v12, vcc_lo
	v_cmp_lt_u64_e32 vcc_lo, s[6:7], v[11:12]
	s_delay_alu instid0(VALU_DEP_2) | instskip(NEXT) | instid1(VALU_DEP_1)
	v_dual_cndmask_b32 v12, v12, v24 :: v_dual_cndmask_b32 v11, v11, v23
	v_lshrrev_b32_e32 v23, 8, v12
	s_delay_alu instid0(VALU_DEP_2) | instskip(SKIP_1) | instid1(VALU_DEP_2)
	v_alignbit_b32 v12, v12, v11, 8
	v_lshlrev_b32_e32 v24, 24, v11
	v_add_co_u32 v11, s2, v12, v23
	s_delay_alu instid0(VALU_DEP_1) | instskip(NEXT) | instid1(VALU_DEP_3)
	v_add_co_ci_u32_e64 v12, null, 0, 0, s2
	v_cmp_ge_u32_e32 vcc_lo, v24, v23
	s_delay_alu instid0(VALU_DEP_3) | instskip(NEXT) | instid1(VALU_DEP_3)
	v_cmp_ne_u32_e64 s2, 0, v11
	v_cmp_lt_u64_e64 s3, s[4:5], v[11:12]
	s_delay_alu instid0(VALU_DEP_2) | instskip(SKIP_2) | instid1(VALU_DEP_3)
	s_or_b32 vcc_lo, vcc_lo, s2
	v_cndmask_b32_e32 v12, -1, v11, vcc_lo
	v_sub_nc_u32_e32 v11, v24, v23
	s_and_b32 s3, vcc_lo, s3
	s_delay_alu instid0(SALU_CYCLE_1)
	s_and_saveexec_b32 s2, s3
; %bb.1:
	s_delay_alu instid0(VALU_DEP_2) | instskip(SKIP_1) | instid1(VALU_DEP_2)
	v_add_nc_u32_e32 v26, 1, v12
	v_cmp_eq_u32_e32 vcc_lo, v24, v23
	v_dual_cndmask_b32 v12, v26, v12 :: v_dual_add_nc_u32 v11, -1, v11
; %bb.2:
	s_or_b32 exec_lo, exec_lo, s2
	v_sub_co_u32 v23, vcc_lo, v3, v21
	v_sub_co_ci_u32_e32 v24, vcc_lo, v4, v22, vcc_lo
	s_delay_alu instid0(VALU_DEP_2) | instskip(NEXT) | instid1(VALU_DEP_2)
	v_add_co_u32 v26, vcc_lo, v23, 1
	v_add_co_ci_u32_e32 v28, vcc_lo, -1, v24, vcc_lo
	v_cmp_lt_u64_e32 vcc_lo, v[3:4], v[21:22]
	s_delay_alu instid0(VALU_DEP_2) | instskip(NEXT) | instid1(VALU_DEP_1)
	v_dual_cndmask_b32 v3, v24, v28 :: v_dual_cndmask_b32 v4, v23, v26
	v_lshlrev_b32_e32 v21, 8, v4
	s_delay_alu instid0(VALU_DEP_2) | instskip(NEXT) | instid1(VALU_DEP_2)
	v_alignbit_b32 v4, v3, v4, 24
	v_sub_nc_u32_e32 v22, 0, v21
	v_cmp_eq_u32_e32 vcc_lo, 0, v21
	s_delay_alu instid0(VALU_DEP_2) | instskip(SKIP_2) | instid1(VALU_DEP_3)
	v_sub_nc_u32_e32 v23, v22, v4
	v_cmp_lt_u32_e64 s2, v22, v4
	v_lshrrev_b32_e32 v22, 24, v3
	v_cmp_eq_u32_e64 s3, -1, v23
	s_delay_alu instid0(VALU_DEP_3) | instskip(NEXT) | instid1(SALU_CYCLE_1)
	s_and_b32 vcc_lo, s2, vcc_lo
	v_add_co_ci_u32_e64 v3, s2, 0, v23, vcc_lo
	s_delay_alu instid0(VALU_DEP_2) | instskip(NEXT) | instid1(VALU_DEP_1)
	v_cndmask_b32_e64 v4, -2, -1, s3
	v_cndmask_b32_e32 v4, v21, v4, vcc_lo
	s_delay_alu instid0(VALU_DEP_1)
	v_cmp_lt_u32_e32 vcc_lo, v4, v22
	v_sub_nc_u32_e32 v4, v4, v22
	s_and_saveexec_b32 s2, vcc_lo
; %bb.3:
	s_delay_alu instid0(VALU_DEP_1) | instskip(SKIP_1) | instid1(VALU_DEP_2)
	v_add_nc_u32_e32 v21, -1, v4
	v_add_co_u32 v3, vcc_lo, v3, 1
	v_cndmask_b32_e32 v4, v21, v4, vcc_lo
; %bb.4:
	s_or_b32 exec_lo, exec_lo, s2
	v_add_co_u32 v19, vcc_lo, v17, v19
	v_add_co_ci_u32_e32 v20, vcc_lo, v18, v20, vcc_lo
	v_add_co_u32 v15, s2, v1, v15
	s_delay_alu instid0(VALU_DEP_3) | instskip(NEXT) | instid1(VALU_DEP_3)
	v_add_co_u32 v21, vcc_lo, v19, -1
	v_add_co_ci_u32_e32 v22, vcc_lo, 0, v20, vcc_lo
	v_cmp_lt_u64_e32 vcc_lo, v[19:20], v[17:18]
	v_add_co_ci_u32_e64 v16, s2, v2, v16, s2
	s_mov_b32 s6, 0
	s_mov_b32 s7, -1
	s_mov_b64 s[10:11], 0xffffffff
	v_dual_cndmask_b32 v18, v20, v22 :: v_dual_cndmask_b32 v17, v19, v21
	s_waitcnt vmcnt(0)
	v_sub_co_u32 v19, vcc_lo, v13, v9
	v_sub_co_ci_u32_e32 v20, vcc_lo, v14, v10, vcc_lo
	s_mov_b32 s8, 1
	s_delay_alu instid0(VALU_DEP_2) | instskip(NEXT) | instid1(VALU_DEP_2)
	v_add_co_u32 v21, vcc_lo, v19, 1
	v_add_co_ci_u32_e32 v22, vcc_lo, -1, v20, vcc_lo
	v_cmp_lt_u64_e32 vcc_lo, v[13:14], v[9:10]
	s_mov_b32 s9, s7
	s_delay_alu instid0(VALU_DEP_2) | instskip(SKIP_3) | instid1(VALU_DEP_4)
	v_dual_cndmask_b32 v26, v20, v22 :: v_dual_cndmask_b32 v19, v19, v21
	v_add_co_u32 v20, vcc_lo, v15, -1
	v_add_co_ci_u32_e32 v21, vcc_lo, 0, v16, vcc_lo
	v_cmp_lt_u64_e32 vcc_lo, v[15:16], v[1:2]
	v_alignbit_b32 v28, v26, v19, 16
	v_lshlrev_b32_e32 v1, 16, v19
	v_add_co_u32 v19, s2, v17, -1
	s_delay_alu instid0(VALU_DEP_1) | instskip(SKIP_1) | instid1(VALU_DEP_4)
	v_add_co_ci_u32_e64 v22, s2, 0, v18, s2
	v_cndmask_b32_e32 v2, v16, v21, vcc_lo
	v_add_co_u32 v23, s3, v28, v1
	v_cndmask_b32_e32 v1, v15, v20, vcc_lo
	v_add_co_ci_u32_e64 v24, null, 0, 0, s3
	v_cmp_eq_u32_e32 vcc_lo, 0, v28
	s_delay_alu instid0(VALU_DEP_4) | instskip(NEXT) | instid1(VALU_DEP_4)
	v_cmp_ne_u32_e64 s3, 0, v23
	v_add_co_u32 v15, s4, v1, -1
	s_delay_alu instid0(VALU_DEP_1) | instskip(NEXT) | instid1(VALU_DEP_3)
	v_add_co_ci_u32_e64 v16, s4, 0, v2, s4
	s_or_b32 s3, vcc_lo, s3
	v_cmp_lt_u64_e64 s2, s[6:7], v[17:18]
	v_cmp_lt_u64_e64 s4, s[6:7], v[1:2]
	v_cndmask_b32_e64 v29, -1, v23, s3
	s_delay_alu instid0(VALU_DEP_3) | instskip(SKIP_1) | instid1(VALU_DEP_4)
	v_cndmask_b32_e64 v20, v18, v22, s2
	v_cndmask_b32_e64 v19, v17, v19, s2
	;; [unrolled: 1-line block ×3, first 2 shown]
	s_delay_alu instid0(VALU_DEP_4)
	v_add_nc_u32_e32 v2, 1, v29
	v_cndmask_b32_e64 v21, v1, v15, s4
	v_cmp_lt_u64_e64 s2, s[10:11], v[23:24]
	v_not_b32_e32 v15, v28
	v_sub_nc_u32_e32 v16, 0, v28
	v_cndmask_b32_e32 v17, v2, v23, vcc_lo
	v_add_co_u32 v1, vcc_lo, v19, v21
	v_add_co_ci_u32_e32 v2, vcc_lo, v20, v22, vcc_lo
	s_and_b32 vcc_lo, s3, s2
	s_delay_alu instid0(VALU_DEP_3)
	v_cndmask_b32_e32 v17, v29, v17, vcc_lo
	v_cndmask_b32_e32 v15, v16, v15, vcc_lo
	v_add_co_u32 v18, vcc_lo, v1, -1
	v_lshrrev_b32_e32 v16, 16, v26
	v_add_co_ci_u32_e32 v23, vcc_lo, 0, v2, vcc_lo
	v_cmp_lt_u64_e32 vcc_lo, v[1:2], v[19:20]
	s_delay_alu instid0(VALU_DEP_3) | instskip(SKIP_1) | instid1(VALU_DEP_4)
	v_sub_nc_u32_e32 v24, v15, v16
	v_cmp_lt_u32_e64 s2, v15, v16
	v_cndmask_b32_e32 v16, v2, v23, vcc_lo
	v_cmp_eq_u32_e64 s3, 0, v17
	s_delay_alu instid0(VALU_DEP_4) | instskip(NEXT) | instid1(VALU_DEP_1)
	v_add_co_u32 v26, s4, v24, 1
	v_cndmask_b32_e64 v28, -2, -1, s4
	v_cndmask_b32_e32 v15, v1, v18, vcc_lo
	s_delay_alu instid0(VALU_DEP_4) | instskip(NEXT) | instid1(VALU_DEP_2)
	s_and_b32 vcc_lo, s2, s3
	v_dual_cndmask_b32 v1, v24, v26 :: v_dual_cndmask_b32 v2, v17, v28
	s_delay_alu instid0(VALU_DEP_2) | instskip(SKIP_1) | instid1(VALU_DEP_3)
	v_add_co_u32 v26, vcc_lo, v15, -1
	v_add_co_ci_u32_e32 v30, vcc_lo, 0, v16, vcc_lo
	v_add_co_u32 v17, vcc_lo, v1, -1
	s_delay_alu instid0(VALU_DEP_4) | instskip(SKIP_3) | instid1(VALU_DEP_3)
	v_add_co_ci_u32_e32 v18, vcc_lo, 0, v2, vcc_lo
	v_sub_co_u32 v23, vcc_lo, v7, v5
	v_sub_co_ci_u32_e32 v24, vcc_lo, v8, v6, vcc_lo
	v_cmp_lt_u64_e32 vcc_lo, s[8:9], v[1:2]
	v_add_co_u32 v28, s2, v23, 1
	v_dual_cndmask_b32 v2, v2, v18 :: v_dual_cndmask_b32 v1, v1, v17
	s_delay_alu instid0(VALU_DEP_4) | instskip(SKIP_1) | instid1(VALU_DEP_1)
	v_add_co_ci_u32_e64 v18, s2, -1, v24, s2
	v_add_co_u32 v13, s2, v9, v13
	v_add_co_ci_u32_e64 v14, s2, v10, v14, s2
	v_cmp_lt_u64_e64 s2, v[7:8], v[5:6]
	s_delay_alu instid0(VALU_DEP_3) | instskip(NEXT) | instid1(VALU_DEP_3)
	v_add_co_u32 v29, s3, v13, -1
	v_cmp_lt_u64_e32 vcc_lo, v[13:14], v[9:10]
	v_add_co_ci_u32_e64 v31, s3, 0, v14, s3
	s_delay_alu instid0(VALU_DEP_4) | instskip(SKIP_2) | instid1(VALU_DEP_1)
	v_cndmask_b32_e64 v18, v24, v18, s2
	v_cndmask_b32_e64 v17, v23, v28, s2
	v_add_co_u32 v23, s2, v5, v7
	v_add_co_ci_u32_e64 v24, s2, v6, v8, s2
	v_dual_cndmask_b32 v9, v14, v31 :: v_dual_cndmask_b32 v8, v13, v29
	s_delay_alu instid0(VALU_DEP_3) | instskip(NEXT) | instid1(VALU_DEP_3)
	v_add_co_u32 v7, vcc_lo, v23, -1
	v_add_co_ci_u32_e32 v10, vcc_lo, 0, v24, vcc_lo
	v_cmp_lt_u64_e32 vcc_lo, v[23:24], v[5:6]
	v_add_co_u32 v28, s2, v1, v17
	s_delay_alu instid0(VALU_DEP_1) | instskip(NEXT) | instid1(VALU_DEP_4)
	v_add_co_ci_u32_e64 v29, s2, v2, v18, s2
	v_dual_cndmask_b32 v14, v24, v10 :: v_dual_cndmask_b32 v13, v23, v7
	v_add_co_u32 v5, vcc_lo, v8, -1
	v_add_co_ci_u32_e32 v6, vcc_lo, 0, v9, vcc_lo
	v_cmp_lt_u64_e32 vcc_lo, s[6:7], v[8:9]
	v_add_co_u32 v31, s3, v28, -1
	s_delay_alu instid0(VALU_DEP_1) | instskip(NEXT) | instid1(VALU_DEP_4)
	v_add_co_ci_u32_e64 v23, s3, 0, v29, s3
	v_cndmask_b32_e32 v6, v9, v6, vcc_lo
	v_add_co_u32 v7, s2, v13, -1
	s_delay_alu instid0(VALU_DEP_1) | instskip(SKIP_3) | instid1(VALU_DEP_3)
	v_add_co_ci_u32_e64 v10, s2, 0, v14, s2
	v_cmp_lt_u64_e64 s2, s[6:7], v[13:14]
	v_cndmask_b32_e32 v5, v8, v5, vcc_lo
	v_cmp_lt_u64_e32 vcc_lo, s[6:7], v[15:16]
	v_cndmask_b32_e64 v8, v14, v10, s2
	v_cndmask_b32_e64 v7, v13, v7, s2
	v_cmp_lt_u64_e64 s2, v[28:29], v[1:2]
	s_delay_alu instid0(VALU_DEP_1) | instskip(NEXT) | instid1(VALU_DEP_3)
	v_cndmask_b32_e64 v10, v29, v23, s2
	v_add_co_u32 v23, s3, v5, v7
	s_delay_alu instid0(VALU_DEP_1) | instskip(SKIP_1) | instid1(VALU_DEP_3)
	v_add_co_ci_u32_e64 v24, s3, v6, v8, s3
	v_cndmask_b32_e64 v9, v28, v31, s2
	v_add_co_u32 v13, s2, v23, -1
	s_delay_alu instid0(VALU_DEP_2) | instskip(SKIP_4) | instid1(VALU_DEP_2)
	v_add_co_u32 v28, s3, v9, -1
	v_cndmask_b32_e32 v14, v16, v30, vcc_lo
	v_add_co_ci_u32_e64 v16, s2, 0, v24, s2
	v_cmp_lt_u64_e64 s2, v[23:24], v[5:6]
	v_add_co_ci_u32_e64 v29, s3, 0, v10, s3
	v_cndmask_b32_e64 v23, v23, v13, s2
	s_delay_alu instid0(VALU_DEP_4) | instskip(SKIP_4) | instid1(VALU_DEP_1)
	v_cndmask_b32_e64 v24, v24, v16, s2
	v_cndmask_b32_e32 v13, v15, v26, vcc_lo
	v_cmp_lt_u64_e32 vcc_lo, s[6:7], v[9:10]
	v_add_co_u32 v26, s3, v11, -1
	v_add_co_u32 v15, s2, v23, -1
	v_add_co_ci_u32_e64 v16, s2, 0, v24, s2
	v_cmp_lt_u64_e64 s2, s[6:7], v[23:24]
	v_dual_cndmask_b32 v10, v10, v29 :: v_dual_cndmask_b32 v9, v9, v28
	v_cmp_lt_u64_e32 vcc_lo, s[8:9], v[11:12]
	v_add_co_ci_u32_e64 v29, s3, 0, v12, s3
	s_delay_alu instid0(VALU_DEP_4) | instskip(SKIP_1) | instid1(VALU_DEP_3)
	v_cndmask_b32_e64 v15, v23, v15, s2
	v_cndmask_b32_e64 v16, v24, v16, s2
	v_dual_cndmask_b32 v12, v12, v29 :: v_dual_cndmask_b32 v11, v11, v26
	s_delay_alu instid0(VALU_DEP_3) | instskip(NEXT) | instid1(VALU_DEP_1)
	v_add_co_u32 v23, s2, v13, v15
	v_add_co_ci_u32_e64 v24, s2, v14, v16, s2
	s_delay_alu instid0(VALU_DEP_3) | instskip(NEXT) | instid1(VALU_DEP_3)
	v_add_co_u32 v28, s2, v11, v9
	v_add_co_u32 v26, vcc_lo, v23, -1
	s_delay_alu instid0(VALU_DEP_3) | instskip(SKIP_2) | instid1(VALU_DEP_4)
	v_add_co_ci_u32_e32 v30, vcc_lo, 0, v24, vcc_lo
	v_cmp_lt_u64_e32 vcc_lo, v[23:24], v[13:14]
	v_add_co_ci_u32_e64 v29, s2, v12, v10, s2
	v_cndmask_b32_e32 v23, v23, v26, vcc_lo
	s_delay_alu instid0(VALU_DEP_4) | instskip(SKIP_1) | instid1(VALU_DEP_4)
	v_cndmask_b32_e32 v24, v24, v30, vcc_lo
	v_add_co_u32 v26, vcc_lo, v28, -1
	v_add_co_ci_u32_e32 v30, vcc_lo, 0, v29, vcc_lo
	s_delay_alu instid0(VALU_DEP_4) | instskip(NEXT) | instid1(VALU_DEP_1)
	v_add_co_u32 v32, s2, v23, -1
	v_add_co_ci_u32_e64 v31, s2, 0, v24, s2
	v_cmp_lt_u64_e32 vcc_lo, v[28:29], v[11:12]
	v_cmp_lt_u64_e64 s2, s[6:7], v[23:24]
	v_cndmask_b32_e32 v29, v29, v30, vcc_lo
	v_cndmask_b32_e32 v28, v28, v26, vcc_lo
	s_delay_alu instid0(VALU_DEP_3) | instskip(SKIP_2) | instid1(VALU_DEP_4)
	v_cndmask_b32_e64 v30, v23, v32, s2
	v_cndmask_b32_e64 v31, v24, v31, s2
	v_lshlrev_b32_e32 v26, 2, v0
	v_add_co_u32 v23, vcc_lo, v28, -1
	s_delay_alu instid0(VALU_DEP_4) | instskip(SKIP_4) | instid1(VALU_DEP_4)
	v_add_co_u32 v32, s2, v30, -1
	v_add_co_ci_u32_e32 v24, vcc_lo, 0, v29, vcc_lo
	v_add_co_ci_u32_e64 v33, s2, 0, v31, s2
	v_cmp_lt_u64_e32 vcc_lo, s[6:7], v[28:29]
	v_cmp_lt_u64_e64 s2, s[8:9], v[30:31]
	v_dual_cndmask_b32 v24, v29, v24 :: v_dual_cndmask_b32 v23, v28, v23
	v_lshlrev_b32_e32 v28, 3, v27
	v_and_b32_e32 v29, 4, v26
	s_delay_alu instid0(VALU_DEP_4)
	v_cndmask_b32_e64 v31, v31, v33, s2
	v_cndmask_b32_e64 v30, v30, v32, s2
	v_cmp_eq_u32_e32 vcc_lo, 1, v25
	ds_store_b64 v28, v[30:31]
	s_and_saveexec_b32 s5, vcc_lo
	s_cbranch_execz .LBB0_8
; %bb.5:
	v_mul_u32_u24_e32 v30, 3, v29
	s_delay_alu instid0(VALU_DEP_1) | instskip(SKIP_2) | instid1(VALU_DEP_3)
	v_sub_nc_u32_e32 v25, 64, v30
	v_sub_nc_u32_e32 v31, 32, v30
	v_lshlrev_b32_e32 v30, v30, v23
	v_lshrrev_b64 v[25:26], v25, v[23:24]
	s_delay_alu instid0(VALU_DEP_3) | instskip(NEXT) | instid1(VALU_DEP_1)
	v_lshrrev_b64 v[31:32], v31, v[23:24]
	v_add_co_u32 v23, s2, v31, v25
	s_delay_alu instid0(VALU_DEP_1) | instskip(SKIP_1) | instid1(VALU_DEP_3)
	v_add_co_ci_u32_e64 v24, s2, 0, v26, s2
	v_cmp_ge_u32_e64 s2, v30, v25
	v_cmp_ne_u32_e64 s3, 0, v23
	s_delay_alu instid0(VALU_DEP_3) | instskip(NEXT) | instid1(VALU_DEP_2)
	v_cmp_lt_u64_e64 s4, s[10:11], v[23:24]
	s_or_b32 s2, s2, s3
	s_delay_alu instid0(SALU_CYCLE_1) | instskip(SKIP_1) | instid1(VALU_DEP_3)
	v_cndmask_b32_e64 v24, -1, v23, s2
	v_sub_nc_u32_e32 v23, v30, v25
	s_and_b32 s2, s2, s4
	s_delay_alu instid0(SALU_CYCLE_1)
	s_and_saveexec_b32 s3, s2
; %bb.6:
	s_delay_alu instid0(VALU_DEP_2) | instskip(SKIP_2) | instid1(VALU_DEP_2)
	v_add_nc_u32_e32 v26, 1, v24
	v_cmp_eq_u32_e64 s2, v30, v25
	v_add_nc_u32_e32 v23, -1, v23
	v_cndmask_b32_e64 v24, v26, v24, s2
; %bb.7:
	s_or_b32 exec_lo, exec_lo, s3
.LBB0_8:
	s_delay_alu instid0(SALU_CYCLE_1) | instskip(SKIP_1) | instid1(VALU_DEP_1)
	s_or_b32 exec_lo, exec_lo, s5
	v_sub_co_u32 v25, s2, v21, v19
	v_sub_co_ci_u32_e64 v26, s2, v22, v20, s2
	s_delay_alu instid0(VALU_DEP_2) | instskip(NEXT) | instid1(VALU_DEP_1)
	v_add_co_u32 v30, s2, v25, 1
	v_add_co_ci_u32_e64 v31, s2, -1, v26, s2
	v_cmp_lt_u64_e64 s2, v[21:22], v[19:20]
	s_delay_alu instid0(VALU_DEP_1) | instskip(NEXT) | instid1(VALU_DEP_4)
	v_cndmask_b32_e64 v21, v26, v31, s2
	v_cndmask_b32_e64 v19, v25, v30, s2
	s_delay_alu instid0(VALU_DEP_1) | instskip(SKIP_2) | instid1(VALU_DEP_2)
	v_alignbit_b32 v22, v21, v19, 16
	v_lshlrev_b32_e32 v19, 16, v19
	v_lshrrev_b32_e32 v21, 16, v21
	v_add_co_u32 v19, s2, v22, v19
	s_delay_alu instid0(VALU_DEP_1) | instskip(SKIP_1) | instid1(VALU_DEP_3)
	v_add_co_ci_u32_e64 v20, null, 0, 0, s2
	v_cmp_eq_u32_e64 s2, 0, v22
	v_cmp_ne_u32_e64 s3, 0, v19
	s_delay_alu instid0(VALU_DEP_3) | instskip(SKIP_2) | instid1(VALU_DEP_4)
	v_cmp_lt_u64_e64 s4, s[10:11], v[19:20]
	v_not_b32_e32 v20, v22
	v_sub_nc_u32_e32 v22, 0, v22
	s_or_b32 s3, s2, s3
	s_delay_alu instid0(SALU_CYCLE_1) | instskip(NEXT) | instid1(VALU_DEP_4)
	v_cndmask_b32_e64 v25, -1, v19, s3
	s_and_b32 s3, s3, s4
	s_delay_alu instid0(VALU_DEP_2) | instid1(SALU_CYCLE_1)
	v_cndmask_b32_e64 v20, v22, v20, s3
	s_delay_alu instid0(VALU_DEP_2) | instskip(NEXT) | instid1(VALU_DEP_2)
	v_add_nc_u32_e32 v26, 1, v25
	v_sub_nc_u32_e32 v22, v20, v21
	s_delay_alu instid0(VALU_DEP_2) | instskip(SKIP_1) | instid1(VALU_DEP_2)
	v_cndmask_b32_e64 v19, v26, v19, s2
	v_cmp_lt_u32_e64 s2, v20, v21
	v_cndmask_b32_e64 v19, v25, v19, s3
	s_delay_alu instid0(VALU_DEP_4) | instskip(NEXT) | instid1(VALU_DEP_1)
	v_add_co_u32 v21, s3, v22, 1
	v_cndmask_b32_e64 v20, -2, -1, s3
	v_sub_co_u32 v25, s4, v7, v5
	s_delay_alu instid0(VALU_DEP_4) | instskip(SKIP_2) | instid1(VALU_DEP_2)
	v_cmp_eq_u32_e64 s3, 0, v19
	v_sub_co_ci_u32_e64 v26, s4, v8, v6, s4
	s_load_b64 s[4:5], s[0:1], 0x0
	s_and_b32 s2, s2, s3
	s_delay_alu instid0(SALU_CYCLE_1) | instskip(SKIP_2) | instid1(VALU_DEP_1)
	v_cndmask_b32_e64 v20, v19, v20, s2
	v_cndmask_b32_e64 v19, v22, v21, s2
	v_add_co_u32 v21, s2, v25, 1
	v_add_co_ci_u32_e64 v22, s2, -1, v26, s2
	v_cmp_lt_u64_e64 s2, v[7:8], v[5:6]
	s_delay_alu instid0(VALU_DEP_4) | instskip(NEXT) | instid1(VALU_DEP_1)
	v_add_co_u32 v7, s3, v19, -1
	v_add_co_ci_u32_e64 v8, s3, 0, v20, s3
	v_cmp_lt_u64_e64 s3, s[8:9], v[19:20]
	s_delay_alu instid0(VALU_DEP_4) | instskip(SKIP_1) | instid1(VALU_DEP_3)
	v_cndmask_b32_e64 v5, v25, v21, s2
	v_cndmask_b32_e64 v6, v26, v22, s2
	;; [unrolled: 1-line block ×4, first 2 shown]
	s_delay_alu instid0(VALU_DEP_2) | instskip(NEXT) | instid1(VALU_DEP_1)
	v_add_co_u32 v19, s2, v7, v5
	v_add_co_ci_u32_e64 v20, s2, v8, v6, s2
	s_delay_alu instid0(VALU_DEP_2) | instskip(NEXT) | instid1(VALU_DEP_1)
	v_add_co_u32 v21, s2, v19, -1
	v_add_co_ci_u32_e64 v22, s2, 0, v20, s2
	v_cmp_lt_u64_e64 s2, v[19:20], v[7:8]
	s_delay_alu instid0(VALU_DEP_1) | instskip(NEXT) | instid1(VALU_DEP_3)
	v_cndmask_b32_e64 v19, v19, v21, s2
	v_cndmask_b32_e64 v20, v20, v22, s2
	v_add_co_u32 v21, s0, v23, -1
	s_delay_alu instid0(VALU_DEP_1) | instskip(NEXT) | instid1(VALU_DEP_4)
	v_add_co_ci_u32_e64 v22, s0, 0, v24, s0
	v_add_co_u32 v25, s0, v19, -1
	s_delay_alu instid0(VALU_DEP_1) | instskip(SKIP_2) | instid1(VALU_DEP_2)
	v_add_co_ci_u32_e64 v26, s0, 0, v20, s0
	v_cmp_lt_u64_e64 s0, s[8:9], v[23:24]
	v_cmp_lt_u64_e64 s1, s[6:7], v[19:20]
	v_cndmask_b32_e64 v22, v24, v22, s0
	s_delay_alu instid0(VALU_DEP_2)
	v_cndmask_b32_e64 v20, v20, v26, s1
	v_cndmask_b32_e64 v21, v23, v21, s0
	v_cndmask_b32_e64 v19, v19, v25, s1
	ds_store_b64 v28, v[21:22] offset:8
	s_and_saveexec_b32 s3, vcc_lo
	s_cbranch_execz .LBB0_12
; %bb.9:
	v_mul_u32_u24_e32 v23, 6, v29
	s_mov_b64 s[6:7], 0xffffffff
	s_delay_alu instid0(VALU_DEP_1) | instskip(SKIP_1) | instid1(VALU_DEP_2)
	v_sub_nc_u32_e32 v21, 64, v23
	v_sub_nc_u32_e32 v24, 32, v23
	v_lshrrev_b64 v[21:22], v21, v[19:20]
	s_delay_alu instid0(VALU_DEP_2) | instskip(SKIP_1) | instid1(VALU_DEP_2)
	v_lshrrev_b64 v[25:26], v24, v[19:20]
	v_lshlrev_b64 v[23:24], v23, v[19:20]
	v_add_co_u32 v19, s0, v25, v21
	s_delay_alu instid0(VALU_DEP_1) | instskip(NEXT) | instid1(VALU_DEP_3)
	v_add_co_ci_u32_e64 v20, s0, 0, v22, s0
	v_cmp_ge_u32_e64 s0, v23, v21
	s_delay_alu instid0(VALU_DEP_3) | instskip(NEXT) | instid1(VALU_DEP_3)
	v_cmp_ne_u32_e64 s1, 0, v19
	v_cmp_lt_u64_e64 s2, s[6:7], v[19:20]
	s_delay_alu instid0(VALU_DEP_2) | instskip(NEXT) | instid1(SALU_CYCLE_1)
	s_or_b32 s0, s0, s1
	v_cndmask_b32_e64 v20, -1, v19, s0
	v_sub_nc_u32_e32 v19, v23, v21
	s_delay_alu instid0(VALU_DEP_3) | instskip(NEXT) | instid1(SALU_CYCLE_1)
	s_and_b32 s0, s0, s2
	s_and_saveexec_b32 s1, s0
; %bb.10:
	s_delay_alu instid0(VALU_DEP_2) | instskip(SKIP_2) | instid1(VALU_DEP_2)
	v_add_nc_u32_e32 v22, 1, v20
	v_cmp_eq_u32_e64 s0, v23, v21
	v_add_nc_u32_e32 v19, -1, v19
	v_cndmask_b32_e64 v20, v22, v20, s0
; %bb.11:
	s_or_b32 exec_lo, exec_lo, s1
.LBB0_12:
	s_delay_alu instid0(SALU_CYCLE_1) | instskip(NEXT) | instid1(VALU_DEP_2)
	s_or_b32 exec_lo, exec_lo, s3
	v_add_co_u32 v21, s0, v19, -1
	s_mov_b32 s3, -1
	s_mov_b32 s2, 1
	v_add_co_ci_u32_e64 v22, s0, 0, v20, s0
	v_cmp_lt_u64_e64 s0, s[2:3], v[19:20]
	v_mul_u32_u24_e32 v23, 9, v29
	s_delay_alu instid0(VALU_DEP_2) | instskip(SKIP_3) | instid1(VALU_DEP_1)
	v_cndmask_b32_e64 v20, v20, v22, s0
	v_cndmask_b32_e64 v19, v19, v21, s0
	ds_store_b64 v28, v[19:20] offset:16
	v_sub_co_u32 v19, s0, v17, v1
	v_sub_co_ci_u32_e64 v20, s0, v18, v2, s0
	s_delay_alu instid0(VALU_DEP_2) | instskip(NEXT) | instid1(VALU_DEP_1)
	v_add_co_u32 v21, s0, v19, 1
	v_add_co_ci_u32_e64 v22, s0, -1, v20, s0
	v_cmp_lt_u64_e64 s0, v[17:18], v[1:2]
	v_add_co_u32 v17, s1, v3, -1
	s_delay_alu instid0(VALU_DEP_1) | instskip(SKIP_1) | instid1(VALU_DEP_4)
	v_add_co_ci_u32_e64 v18, s1, 0, v4, s1
	v_cmp_lt_u64_e64 s1, s[2:3], v[3:4]
	v_cndmask_b32_e64 v1, v19, v21, s0
	v_cndmask_b32_e64 v2, v20, v22, s0
	s_mov_b32 s2, 0
	s_delay_alu instid0(VALU_DEP_3) | instskip(SKIP_2) | instid1(VALU_DEP_2)
	v_cndmask_b32_e64 v3, v3, v17, s1
	v_cndmask_b32_e64 v4, v4, v18, s1
	s_mov_b32 s1, exec_lo
	v_add_co_u32 v17, s0, v3, v1
	s_delay_alu instid0(VALU_DEP_1) | instskip(NEXT) | instid1(VALU_DEP_2)
	v_add_co_ci_u32_e64 v18, s0, v4, v2, s0
	v_add_co_u32 v19, s0, v17, -1
	s_delay_alu instid0(VALU_DEP_1) | instskip(SKIP_1) | instid1(VALU_DEP_1)
	v_add_co_ci_u32_e64 v20, s0, 0, v18, s0
	v_cmp_lt_u64_e64 s0, v[17:18], v[3:4]
	v_cndmask_b32_e64 v17, v17, v19, s0
	s_delay_alu instid0(VALU_DEP_3) | instskip(NEXT) | instid1(VALU_DEP_2)
	v_cndmask_b32_e64 v18, v18, v20, s0
	v_add_co_u32 v19, s0, v17, -1
	s_delay_alu instid0(VALU_DEP_1) | instskip(SKIP_1) | instid1(VALU_DEP_1)
	v_add_co_ci_u32_e64 v20, s0, 0, v18, s0
	v_cmp_lt_u64_e64 s0, s[2:3], v[17:18]
	v_cndmask_b32_e64 v18, v18, v20, s0
	s_delay_alu instid0(VALU_DEP_4)
	v_cndmask_b32_e64 v17, v17, v19, s0
                                        ; implicit-def: $vgpr19_vgpr20
	v_cmpx_lt_i32_e32 23, v23
	s_xor_b32 s3, exec_lo, s1
	s_cbranch_execnz .LBB0_15
; %bb.13:
	s_and_not1_saveexec_b32 s1, s3
	s_cbranch_execnz .LBB0_22
.LBB0_14:
	s_or_b32 exec_lo, exec_lo, s1
	s_and_saveexec_b32 s3, s2
	s_cbranch_execnz .LBB0_23
	s_branch .LBB0_26
.LBB0_15:
                                        ; implicit-def: $vgpr19_vgpr20
	s_mov_b32 s1, exec_lo
	v_cmpx_lt_i32_e32 35, v23
	s_xor_b32 s6, exec_lo, s1
	s_cbranch_execz .LBB0_19
; %bb.16:
	v_dual_mov_b32 v20, v18 :: v_dual_mov_b32 v19, v17
	s_mov_b32 s7, exec_lo
	v_cmpx_eq_u32_e32 36, v23
	s_cbranch_execz .LBB0_18
; %bb.17:
	v_alignbit_b32 v21, v18, v17, 28
	v_lshlrev_b32_e32 v19, 4, v17
	s_mov_b64 s[8:9], 0xffffffff
	s_delay_alu instid0(VALU_DEP_1) | instskip(NEXT) | instid1(VALU_DEP_1)
	v_add_co_u32 v19, s0, v21, v19
	v_add_co_ci_u32_e64 v20, null, 0, 0, s0
	v_cmp_eq_u32_e64 s0, 0, v21
	s_delay_alu instid0(VALU_DEP_3) | instskip(NEXT) | instid1(VALU_DEP_3)
	v_cmp_ne_u32_e64 s1, 0, v19
	v_cmp_lt_u64_e64 s2, s[8:9], v[19:20]
	v_sub_nc_u32_e32 v20, 0, v21
	v_not_b32_e32 v21, v21
	s_delay_alu instid0(VALU_DEP_4) | instskip(NEXT) | instid1(SALU_CYCLE_1)
	s_or_b32 s1, s0, s1
	v_cndmask_b32_e64 v22, -1, v19, s1
	s_delay_alu instid0(VALU_DEP_1) | instskip(NEXT) | instid1(VALU_DEP_1)
	v_add_nc_u32_e32 v24, 1, v22
	v_cndmask_b32_e64 v19, v24, v19, s0
	s_and_b32 s0, s1, s2
	v_lshrrev_b32_e32 v24, 28, v18
	v_cndmask_b32_e64 v20, v20, v21, s0
	s_delay_alu instid0(VALU_DEP_3) | instskip(NEXT) | instid1(VALU_DEP_2)
	v_cndmask_b32_e64 v19, v22, v19, s0
	v_sub_nc_u32_e32 v21, v20, v24
	v_cmp_lt_u32_e64 s0, v20, v24
	s_delay_alu instid0(VALU_DEP_3) | instskip(NEXT) | instid1(VALU_DEP_3)
	v_cmp_eq_u32_e64 s1, 0, v19
	v_add_co_u32 v22, s2, v21, 1
	s_delay_alu instid0(VALU_DEP_1) | instskip(NEXT) | instid1(VALU_DEP_3)
	v_cndmask_b32_e64 v20, -2, -1, s2
	s_and_b32 s0, s0, s1
	s_delay_alu instid0(VALU_DEP_1) | instid1(SALU_CYCLE_1)
	v_cndmask_b32_e64 v20, v19, v20, s0
	s_delay_alu instid0(VALU_DEP_3)
	v_cndmask_b32_e64 v19, v21, v22, s0
.LBB0_18:
	s_or_b32 exec_lo, exec_lo, s7
.LBB0_19:
	s_or_saveexec_b32 s1, s6
	s_mov_b32 s0, 0
	s_xor_b32 exec_lo, exec_lo, s1
; %bb.20:
	v_cmp_eq_u32_e64 s0, 24, v23
	v_dual_mov_b32 v20, v18 :: v_dual_mov_b32 v19, v17
	s_delay_alu instid0(VALU_DEP_2)
	s_and_b32 s0, s0, exec_lo
; %bb.21:
	s_or_b32 exec_lo, exec_lo, s1
	s_delay_alu instid0(SALU_CYCLE_1)
	s_and_b32 s2, s0, exec_lo
	s_and_not1_saveexec_b32 s1, s3
	s_cbranch_execz .LBB0_14
.LBB0_22:
	v_cmp_eq_u32_e64 s0, 12, v23
	v_dual_mov_b32 v20, v18 :: v_dual_mov_b32 v19, v17
	s_and_not1_b32 s2, s2, exec_lo
	s_delay_alu instid0(VALU_DEP_2) | instskip(NEXT) | instid1(SALU_CYCLE_1)
	s_and_b32 s0, s0, exec_lo
	s_or_b32 s2, s2, s0
	s_or_b32 exec_lo, exec_lo, s1
	s_and_saveexec_b32 s3, s2
	s_cbranch_execz .LBB0_26
.LBB0_23:
	v_sub_nc_u32_e32 v19, 64, v23
	v_sub_nc_u32_e32 v20, 32, v23
	s_mov_b64 s[6:7], 0xffffffff
	s_delay_alu instid0(VALU_DEP_2) | instskip(NEXT) | instid1(VALU_DEP_2)
	v_lshrrev_b64 v[21:22], v19, v[17:18]
	v_lshrrev_b64 v[19:20], v20, v[17:18]
	v_lshlrev_b64 v[17:18], v23, v[17:18]
	s_delay_alu instid0(VALU_DEP_2) | instskip(NEXT) | instid1(VALU_DEP_1)
	v_add_co_u32 v18, s0, v19, v21
	v_add_co_ci_u32_e64 v19, s0, 0, v22, s0
	s_delay_alu instid0(VALU_DEP_3) | instskip(NEXT) | instid1(VALU_DEP_3)
	v_cmp_ge_u32_e64 s0, v17, v21
	v_cmp_ne_u32_e64 s1, 0, v18
	s_delay_alu instid0(VALU_DEP_3) | instskip(SKIP_1) | instid1(VALU_DEP_3)
	v_cmp_lt_u64_e64 s2, s[6:7], v[18:19]
	v_sub_nc_u32_e32 v19, v17, v21
	s_or_b32 s0, s0, s1
	s_delay_alu instid0(SALU_CYCLE_1) | instskip(NEXT) | instid1(VALU_DEP_3)
	v_cndmask_b32_e64 v20, -1, v18, s0
	s_and_b32 s0, s0, s2
	s_delay_alu instid0(SALU_CYCLE_1)
	s_and_saveexec_b32 s1, s0
; %bb.24:
	s_delay_alu instid0(VALU_DEP_1) | instskip(SKIP_2) | instid1(VALU_DEP_2)
	v_add_nc_u32_e32 v18, 1, v20
	v_cmp_eq_u32_e64 s0, v17, v21
	v_add_nc_u32_e32 v19, -1, v19
	v_cndmask_b32_e64 v20, v18, v20, s0
; %bb.25:
	s_or_b32 exec_lo, exec_lo, s1
.LBB0_26:
	s_delay_alu instid0(SALU_CYCLE_1) | instskip(SKIP_1) | instid1(VALU_DEP_1)
	s_or_b32 exec_lo, exec_lo, s3
	v_sub_co_u32 v17, s0, v15, v13
	v_sub_co_ci_u32_e64 v18, s0, v16, v14, s0
	s_mov_b32 s2, 1
	s_delay_alu instid0(VALU_DEP_2) | instskip(NEXT) | instid1(VALU_DEP_1)
	v_add_co_u32 v21, s0, v17, 1
	v_add_co_ci_u32_e64 v22, s0, -1, v18, s0
	v_add_co_u32 v23, s0, v19, -1
	s_mov_b32 s3, -1
	v_add_co_ci_u32_e64 v24, s0, 0, v20, s0
	v_cmp_lt_u64_e64 s0, s[2:3], v[19:20]
	v_cmp_lt_u64_e64 s1, v[15:16], v[13:14]
	s_mov_b64 s[6:7], 0xffffffff
	s_delay_alu instid0(VALU_DEP_2) | instskip(NEXT) | instid1(VALU_DEP_2)
	v_cndmask_b32_e64 v16, v20, v24, s0
	v_cndmask_b32_e64 v14, v18, v22, s1
	;; [unrolled: 1-line block ×4, first 2 shown]
	ds_store_b64 v28, v[15:16] offset:24
	s_and_saveexec_b32 s8, vcc_lo
	s_cbranch_execz .LBB0_28
; %bb.27:
	v_mul_u32_u24_e32 v19, 12, v29
	v_mad_u32_u24 v15, v29, 12, 0xffffffe0
	s_delay_alu instid0(VALU_DEP_2) | instskip(NEXT) | instid1(VALU_DEP_2)
	v_sub_nc_u32_e32 v17, 64, v19
	v_lshlrev_b64 v[15:16], v15, v[13:14]
	v_sub_nc_u32_e32 v19, 0x60, v19
	s_delay_alu instid0(VALU_DEP_3) | instskip(NEXT) | instid1(VALU_DEP_2)
	v_lshrrev_b64 v[16:17], v17, v[13:14]
	v_lshrrev_b64 v[13:14], v19, v[13:14]
	s_delay_alu instid0(VALU_DEP_2) | instskip(NEXT) | instid1(VALU_DEP_1)
	v_add_co_u32 v17, s0, v16, v15
	v_add_co_ci_u32_e64 v18, null, 0, 0, s0
	v_cmp_eq_u32_e32 vcc_lo, 0, v16
	s_delay_alu instid0(VALU_DEP_3) | instskip(NEXT) | instid1(VALU_DEP_3)
	v_cmp_ne_u32_e64 s0, 0, v17
	v_cmp_lt_u64_e64 s1, s[6:7], v[17:18]
	v_sub_nc_u32_e32 v18, 0, v16
	v_not_b32_e32 v16, v16
	s_delay_alu instid0(VALU_DEP_4) | instskip(NEXT) | instid1(SALU_CYCLE_1)
	s_or_b32 s0, vcc_lo, s0
	v_cndmask_b32_e64 v15, -1, v17, s0
	s_delay_alu instid0(VALU_DEP_1) | instskip(NEXT) | instid1(VALU_DEP_1)
	v_add_nc_u32_e32 v20, 1, v15
	v_cndmask_b32_e32 v17, v20, v17, vcc_lo
	s_and_b32 vcc_lo, s0, s1
	s_delay_alu instid0(VALU_DEP_1) | instskip(NEXT) | instid1(VALU_DEP_1)
	v_dual_cndmask_b32 v14, v15, v17 :: v_dual_cndmask_b32 v15, v18, v16
	v_cmp_eq_u32_e64 s0, 0, v14
	s_delay_alu instid0(VALU_DEP_2) | instskip(SKIP_1) | instid1(VALU_DEP_2)
	v_sub_nc_u32_e32 v16, v15, v13
	v_cmp_lt_u32_e32 vcc_lo, v15, v13
	v_add_co_u32 v13, s1, v16, 1
	s_delay_alu instid0(VALU_DEP_1) | instskip(SKIP_1) | instid1(VALU_DEP_1)
	v_cndmask_b32_e64 v15, -2, -1, s1
	s_and_b32 vcc_lo, vcc_lo, s0
	v_dual_cndmask_b32 v13, v16, v13 :: v_dual_cndmask_b32 v14, v14, v15
.LBB0_28:
	s_or_b32 exec_lo, exec_lo, s8
	s_delay_alu instid0(VALU_DEP_1) | instskip(NEXT) | instid1(VALU_DEP_2)
	v_add_co_u32 v15, vcc_lo, v13, -1
	v_add_co_ci_u32_e32 v16, vcc_lo, 0, v14, vcc_lo
	v_cmp_lt_u64_e32 vcc_lo, s[2:3], v[13:14]
	s_mov_b32 s0, exec_lo
	s_delay_alu instid0(VALU_DEP_2) | instskip(SKIP_4) | instid1(VALU_DEP_3)
	v_dual_cndmask_b32 v14, v14, v16 :: v_dual_cndmask_b32 v13, v13, v15
	ds_store_b64 v28, v[13:14] offset:32
	v_sub_co_u32 v14, vcc_lo, v9, v11
	v_sub_co_ci_u32_e32 v15, vcc_lo, v10, v12, vcc_lo
	v_mul_u32_u24_e32 v13, 15, v29
	v_add_co_u32 v16, vcc_lo, v14, 1
	s_delay_alu instid0(VALU_DEP_3) | instskip(SKIP_1) | instid1(VALU_DEP_2)
	v_add_co_ci_u32_e32 v17, vcc_lo, -1, v15, vcc_lo
	v_cmp_lt_u64_e32 vcc_lo, v[9:10], v[11:12]
	v_dual_cndmask_b32 v10, v15, v17 :: v_dual_cndmask_b32 v9, v14, v16
	v_cmpx_lt_i32_e32 35, v13
	s_xor_b32 s2, exec_lo, s0
	s_cbranch_execz .LBB0_34
; %bb.29:
	s_mov_b32 s1, 0
	s_mov_b32 s0, exec_lo
	v_cmpx_lt_i32_e32 47, v13
	s_xor_b32 s0, exec_lo, s0
	s_cbranch_execnz .LBB0_38
; %bb.30:
	s_and_not1_saveexec_b32 s0, s0
	s_cbranch_execnz .LBB0_43
.LBB0_31:
	s_or_b32 exec_lo, exec_lo, s0
	s_and_saveexec_b32 s3, s1
	s_cbranch_execz .LBB0_33
.LBB0_32:
	v_sub_nc_u32_e32 v11, 64, v13
	v_subrev_nc_u32_e32 v14, 32, v13
	s_mov_b64 s[6:7], 0xffffffff
	v_sub_nc_u32_e32 v13, 0x60, v13
	s_delay_alu instid0(VALU_DEP_3) | instskip(NEXT) | instid1(VALU_DEP_3)
	v_lshrrev_b64 v[11:12], v11, v[9:10]
	v_lshlrev_b64 v[14:15], v14, v[9:10]
	s_delay_alu instid0(VALU_DEP_3) | instskip(NEXT) | instid1(VALU_DEP_3)
	v_lshrrev_b64 v[9:10], v13, v[9:10]
	v_cmp_eq_u32_e32 vcc_lo, 0, v11
	s_delay_alu instid0(VALU_DEP_3) | instskip(NEXT) | instid1(VALU_DEP_1)
	v_add_co_u32 v14, s0, v11, v14
	v_add_co_ci_u32_e64 v15, null, 0, 0, s0
	s_delay_alu instid0(VALU_DEP_2) | instskip(NEXT) | instid1(VALU_DEP_2)
	v_cmp_ne_u32_e64 s0, 0, v14
	v_cmp_lt_u64_e64 s1, s[6:7], v[14:15]
	v_sub_nc_u32_e32 v15, 0, v11
	v_not_b32_e32 v11, v11
	s_delay_alu instid0(VALU_DEP_4) | instskip(NEXT) | instid1(SALU_CYCLE_1)
	s_or_b32 s0, vcc_lo, s0
	v_cndmask_b32_e64 v12, -1, v14, s0
	s_delay_alu instid0(VALU_DEP_1) | instskip(NEXT) | instid1(VALU_DEP_1)
	v_add_nc_u32_e32 v16, 1, v12
	v_cndmask_b32_e32 v14, v16, v14, vcc_lo
	s_and_b32 vcc_lo, s0, s1
	s_delay_alu instid0(VALU_DEP_1) | instskip(NEXT) | instid1(VALU_DEP_1)
	v_dual_cndmask_b32 v11, v15, v11 :: v_dual_cndmask_b32 v10, v12, v14
	v_sub_nc_u32_e32 v12, v11, v9
	v_cmp_lt_u32_e32 vcc_lo, v11, v9
	s_delay_alu instid0(VALU_DEP_3) | instskip(NEXT) | instid1(VALU_DEP_3)
	v_cmp_eq_u32_e64 s0, 0, v10
	v_add_co_u32 v9, s1, v12, 1
	s_delay_alu instid0(VALU_DEP_1) | instskip(NEXT) | instid1(VALU_DEP_3)
	v_cndmask_b32_e64 v11, -2, -1, s1
	s_and_b32 vcc_lo, vcc_lo, s0
	s_delay_alu instid0(VALU_DEP_1)
	v_dual_cndmask_b32 v9, v12, v9 :: v_dual_cndmask_b32 v10, v10, v11
.LBB0_33:
	s_or_b32 exec_lo, exec_lo, s3
                                        ; implicit-def: $vgpr13
.LBB0_34:
	s_and_not1_saveexec_b32 s2, s2
	s_cbranch_execz .LBB0_50
; %bb.35:
	s_mov_b32 s0, 0
	s_mov_b32 s1, exec_lo
	v_cmpx_lt_i32_e32 23, v13
	s_xor_b32 s1, exec_lo, s1
	s_cbranch_execnz .LBB0_44
; %bb.36:
	s_and_not1_saveexec_b32 s1, s1
	s_cbranch_execnz .LBB0_45
.LBB0_37:
	s_or_b32 exec_lo, exec_lo, s1
	s_and_saveexec_b32 s3, s0
	s_cbranch_execnz .LBB0_46
	s_branch .LBB0_49
.LBB0_38:
	s_mov_b32 s3, exec_lo
	v_cmpx_lt_i32_e32 59, v13
	s_xor_b32 s3, exec_lo, s3
; %bb.39:
	v_cmp_eq_u32_e32 vcc_lo, 60, v13
	s_and_b32 s1, vcc_lo, exec_lo
; %bb.40:
	s_and_not1_saveexec_b32 s3, s3
; %bb.41:
	v_cmp_eq_u32_e32 vcc_lo, 48, v13
	s_and_not1_b32 s1, s1, exec_lo
	s_and_b32 s6, vcc_lo, exec_lo
	s_delay_alu instid0(SALU_CYCLE_1)
	s_or_b32 s1, s1, s6
; %bb.42:
	s_or_b32 exec_lo, exec_lo, s3
	s_delay_alu instid0(SALU_CYCLE_1)
	s_and_b32 s1, s1, exec_lo
	s_and_not1_saveexec_b32 s0, s0
	s_cbranch_execz .LBB0_31
.LBB0_43:
	v_cmp_eq_u32_e32 vcc_lo, 36, v13
	s_and_not1_b32 s1, s1, exec_lo
	s_and_b32 s3, vcc_lo, exec_lo
	s_delay_alu instid0(SALU_CYCLE_1)
	s_or_b32 s1, s1, s3
	s_or_b32 exec_lo, exec_lo, s0
	s_and_saveexec_b32 s3, s1
	s_cbranch_execnz .LBB0_32
	s_branch .LBB0_33
.LBB0_44:
	v_cmp_eq_u32_e32 vcc_lo, 24, v13
	s_and_b32 s0, vcc_lo, exec_lo
	s_and_not1_saveexec_b32 s1, s1
	s_cbranch_execz .LBB0_37
.LBB0_45:
	v_cmp_eq_u32_e32 vcc_lo, 12, v13
	s_and_not1_b32 s0, s0, exec_lo
	s_and_b32 s3, vcc_lo, exec_lo
	s_delay_alu instid0(SALU_CYCLE_1)
	s_or_b32 s0, s0, s3
	s_or_b32 exec_lo, exec_lo, s1
	s_and_saveexec_b32 s3, s0
	s_cbranch_execz .LBB0_49
.LBB0_46:
	v_sub_nc_u32_e32 v11, 64, v13
	v_sub_nc_u32_e32 v14, 32, v13
	s_mov_b64 s[6:7], 0xffffffff
	s_delay_alu instid0(VALU_DEP_2) | instskip(NEXT) | instid1(VALU_DEP_2)
	v_lshrrev_b64 v[11:12], v11, v[9:10]
	v_lshrrev_b64 v[15:16], v14, v[9:10]
	v_lshlrev_b64 v[13:14], v13, v[9:10]
	s_delay_alu instid0(VALU_DEP_2) | instskip(NEXT) | instid1(VALU_DEP_4)
	v_add_co_u32 v9, vcc_lo, v15, v11
	v_add_co_ci_u32_e32 v10, vcc_lo, 0, v12, vcc_lo
	s_delay_alu instid0(VALU_DEP_3) | instskip(NEXT) | instid1(VALU_DEP_3)
	v_cmp_ge_u32_e32 vcc_lo, v13, v11
	v_cmp_ne_u32_e64 s0, 0, v9
	s_delay_alu instid0(VALU_DEP_3) | instskip(NEXT) | instid1(VALU_DEP_2)
	v_cmp_lt_u64_e64 s1, s[6:7], v[9:10]
	s_or_b32 vcc_lo, vcc_lo, s0
	v_cndmask_b32_e32 v10, -1, v9, vcc_lo
	v_sub_nc_u32_e32 v9, v13, v11
	s_delay_alu instid0(VALU_DEP_3) | instskip(NEXT) | instid1(SALU_CYCLE_1)
	s_and_b32 s1, vcc_lo, s1
	s_and_saveexec_b32 s0, s1
; %bb.47:
	s_delay_alu instid0(VALU_DEP_2) | instskip(SKIP_1) | instid1(VALU_DEP_2)
	v_add_nc_u32_e32 v12, 1, v10
	v_cmp_eq_u32_e32 vcc_lo, v13, v11
	v_dual_cndmask_b32 v10, v12, v10 :: v_dual_add_nc_u32 v9, -1, v9
; %bb.48:
	s_or_b32 exec_lo, exec_lo, s0
.LBB0_49:
	s_delay_alu instid0(SALU_CYCLE_1)
	s_or_b32 exec_lo, exec_lo, s3
.LBB0_50:
	s_delay_alu instid0(SALU_CYCLE_1)
	s_or_b32 exec_lo, exec_lo, s2
	s_mov_b32 s0, 1
	v_add_co_u32 v11, vcc_lo, v9, -1
	s_mov_b32 s1, -1
	v_add_co_ci_u32_e32 v12, vcc_lo, 0, v10, vcc_lo
	v_cmp_lt_u64_e32 vcc_lo, s[0:1], v[9:10]
	s_mov_b32 s0, exec_lo
	s_delay_alu instid0(VALU_DEP_2) | instskip(SKIP_3) | instid1(VALU_DEP_2)
	v_dual_cndmask_b32 v10, v10, v12 :: v_dual_cndmask_b32 v9, v9, v11
	ds_store_b64 v28, v[9:10] offset:40
	v_sub_co_u32 v9, vcc_lo, v5, v7
	v_sub_co_ci_u32_e32 v10, vcc_lo, v6, v8, vcc_lo
	v_add_co_u32 v11, vcc_lo, v9, 1
	s_delay_alu instid0(VALU_DEP_2) | instskip(SKIP_2) | instid1(VALU_DEP_3)
	v_add_co_ci_u32_e32 v12, vcc_lo, -1, v10, vcc_lo
	v_cmp_lt_u64_e32 vcc_lo, v[5:6], v[7:8]
	v_mul_u32_u24_e32 v7, 18, v29
	v_dual_cndmask_b32 v6, v10, v12 :: v_dual_cndmask_b32 v5, v9, v11
	s_delay_alu instid0(VALU_DEP_2)
	v_cmpx_lt_i32_e32 47, v7
	s_xor_b32 s2, exec_lo, s0
	s_cbranch_execz .LBB0_62
; %bb.51:
	s_mov_b32 s0, exec_lo
	v_cmpx_lt_i32_e32 0x47, v7
	s_xor_b32 s3, exec_lo, s0
	s_cbranch_execz .LBB0_57
; %bb.52:
	s_mov_b32 s6, exec_lo
	v_cmpx_eq_u32_e32 0x48, v7
	s_cbranch_execz .LBB0_56
; %bb.53:
	v_lshlrev_b32_e32 v7, 8, v5
	v_alignbit_b32 v5, v6, v5, 24
	v_lshrrev_b32_e32 v6, 24, v6
	s_delay_alu instid0(VALU_DEP_3) | instskip(SKIP_1) | instid1(VALU_DEP_2)
	v_sub_nc_u32_e32 v8, 0, v7
	v_cmp_eq_u32_e32 vcc_lo, 0, v7
	v_sub_nc_u32_e32 v9, v8, v5
	v_cmp_lt_u32_e64 s0, v8, v5
	s_delay_alu instid0(VALU_DEP_2) | instskip(NEXT) | instid1(VALU_DEP_2)
	v_cmp_eq_u32_e64 s1, -1, v9
	s_and_b32 vcc_lo, s0, vcc_lo
	s_delay_alu instid0(SALU_CYCLE_1) | instskip(NEXT) | instid1(VALU_DEP_2)
	v_add_co_ci_u32_e64 v5, s0, 0, v9, vcc_lo
	v_cndmask_b32_e64 v8, -2, -1, s1
	s_delay_alu instid0(VALU_DEP_1) | instskip(NEXT) | instid1(VALU_DEP_1)
	v_cndmask_b32_e32 v7, v7, v8, vcc_lo
	v_cmp_lt_u32_e32 vcc_lo, v7, v6
	v_sub_nc_u32_e32 v6, v7, v6
	s_and_saveexec_b32 s0, vcc_lo
; %bb.54:
	s_delay_alu instid0(VALU_DEP_1) | instskip(SKIP_1) | instid1(VALU_DEP_2)
	v_add_nc_u32_e32 v7, -1, v6
	v_add_co_u32 v5, vcc_lo, v5, 1
	v_cndmask_b32_e32 v6, v7, v6, vcc_lo
; %bb.55:
	s_or_b32 exec_lo, exec_lo, s0
.LBB0_56:
	s_delay_alu instid0(SALU_CYCLE_1)
	s_or_b32 exec_lo, exec_lo, s6
                                        ; implicit-def: $vgpr7
.LBB0_57:
	s_and_not1_saveexec_b32 s3, s3
	s_cbranch_execz .LBB0_61
; %bb.58:
	s_mov_b32 s6, exec_lo
	v_cmpx_eq_u32_e32 48, v7
	s_cbranch_execz .LBB0_60
; %bb.59:
	v_alignbit_b32 v9, v6, v5, 16
	v_lshlrev_b32_e32 v5, 16, v5
	s_mov_b64 s[8:9], 0xffffffff
	v_lshrrev_b32_e32 v6, 16, v6
	s_delay_alu instid0(VALU_DEP_3) | instskip(NEXT) | instid1(VALU_DEP_3)
	v_cmp_eq_u32_e32 vcc_lo, 0, v9
	v_add_co_u32 v7, s0, v9, v5
	s_delay_alu instid0(VALU_DEP_1) | instskip(NEXT) | instid1(VALU_DEP_2)
	v_add_co_ci_u32_e64 v8, null, 0, 0, s0
	v_cmp_ne_u32_e64 s0, 0, v7
	s_delay_alu instid0(VALU_DEP_2) | instskip(SKIP_2) | instid1(VALU_DEP_4)
	v_cmp_lt_u64_e64 s1, s[8:9], v[7:8]
	v_sub_nc_u32_e32 v8, 0, v9
	v_not_b32_e32 v9, v9
	s_or_b32 s0, vcc_lo, s0
	s_delay_alu instid0(SALU_CYCLE_1) | instskip(NEXT) | instid1(VALU_DEP_1)
	v_cndmask_b32_e64 v5, -1, v7, s0
	v_add_nc_u32_e32 v10, 1, v5
	s_delay_alu instid0(VALU_DEP_1) | instskip(SKIP_1) | instid1(VALU_DEP_1)
	v_cndmask_b32_e32 v7, v10, v7, vcc_lo
	s_and_b32 vcc_lo, s0, s1
	v_cndmask_b32_e32 v5, v5, v7, vcc_lo
	v_cndmask_b32_e32 v7, v8, v9, vcc_lo
	s_delay_alu instid0(VALU_DEP_2) | instskip(NEXT) | instid1(VALU_DEP_2)
	v_cmp_eq_u32_e64 s0, 0, v5
	v_sub_nc_u32_e32 v8, v7, v6
	v_cmp_lt_u32_e32 vcc_lo, v7, v6
	s_delay_alu instid0(VALU_DEP_2) | instskip(NEXT) | instid1(VALU_DEP_1)
	v_add_co_u32 v7, s1, v8, 1
	v_cndmask_b32_e64 v6, -2, -1, s1
	s_and_b32 vcc_lo, vcc_lo, s0
	s_delay_alu instid0(VALU_DEP_1)
	v_dual_cndmask_b32 v6, v5, v6 :: v_dual_cndmask_b32 v5, v8, v7
.LBB0_60:
	s_or_b32 exec_lo, exec_lo, s6
.LBB0_61:
	s_delay_alu instid0(SALU_CYCLE_1)
	s_or_b32 exec_lo, exec_lo, s3
                                        ; implicit-def: $vgpr7
.LBB0_62:
	s_and_not1_saveexec_b32 s2, s2
	s_cbranch_execz .LBB0_68
; %bb.63:
	s_mov_b32 s3, exec_lo
	v_cmpx_eq_u32_e32 24, v7
	s_cbranch_execz .LBB0_67
; %bb.64:
	v_lshrrev_b32_e32 v7, 8, v6
	v_alignbit_b32 v6, v6, v5, 8
	v_lshlrev_b32_e32 v8, 24, v5
	s_mov_b64 s[6:7], 0xffffffff
	s_delay_alu instid0(VALU_DEP_2) | instskip(NEXT) | instid1(VALU_DEP_1)
	v_add_co_u32 v5, s0, v6, v7
	v_add_co_ci_u32_e64 v6, null, 0, 0, s0
	s_delay_alu instid0(VALU_DEP_3) | instskip(NEXT) | instid1(VALU_DEP_3)
	v_cmp_ge_u32_e32 vcc_lo, v8, v7
	v_cmp_ne_u32_e64 s0, 0, v5
	s_delay_alu instid0(VALU_DEP_3) | instskip(NEXT) | instid1(VALU_DEP_2)
	v_cmp_lt_u64_e64 s1, s[6:7], v[5:6]
	s_or_b32 vcc_lo, vcc_lo, s0
	v_cndmask_b32_e32 v6, -1, v5, vcc_lo
	v_sub_nc_u32_e32 v5, v8, v7
	s_delay_alu instid0(VALU_DEP_3) | instskip(NEXT) | instid1(SALU_CYCLE_1)
	s_and_b32 s1, vcc_lo, s1
	s_and_saveexec_b32 s0, s1
; %bb.65:
	s_delay_alu instid0(VALU_DEP_2) | instskip(SKIP_1) | instid1(VALU_DEP_2)
	v_add_nc_u32_e32 v9, 1, v6
	v_cmp_eq_u32_e32 vcc_lo, v8, v7
	v_dual_cndmask_b32 v6, v9, v6 :: v_dual_add_nc_u32 v5, -1, v5
; %bb.66:
	s_or_b32 exec_lo, exec_lo, s0
.LBB0_67:
	s_delay_alu instid0(SALU_CYCLE_1)
	s_or_b32 exec_lo, exec_lo, s3
.LBB0_68:
	s_delay_alu instid0(SALU_CYCLE_1)
	s_or_b32 exec_lo, exec_lo, s2
	s_mov_b32 s0, 1
	v_add_co_u32 v7, vcc_lo, v5, -1
	s_mov_b32 s1, -1
	v_add_co_ci_u32_e32 v8, vcc_lo, 0, v6, vcc_lo
	v_cmp_lt_u64_e32 vcc_lo, s[0:1], v[5:6]
	s_mov_b32 s2, 0
	s_mov_b32 s0, 0
	s_mov_b32 s1, exec_lo
	v_dual_cndmask_b32 v6, v6, v8 :: v_dual_cndmask_b32 v5, v5, v7
	v_mul_u32_u24_e32 v7, 21, v29
	ds_store_b64 v28, v[5:6] offset:48
	v_sub_co_u32 v5, vcc_lo, v1, v3
	v_sub_co_ci_u32_e32 v6, vcc_lo, v2, v4, vcc_lo
	s_delay_alu instid0(VALU_DEP_2) | instskip(NEXT) | instid1(VALU_DEP_2)
	v_add_co_u32 v8, vcc_lo, v5, 1
	v_add_co_ci_u32_e32 v9, vcc_lo, -1, v6, vcc_lo
	v_cmp_lt_u64_e32 vcc_lo, v[1:2], v[3:4]
                                        ; implicit-def: $vgpr3_vgpr4
	s_delay_alu instid0(VALU_DEP_2)
	v_dual_cndmask_b32 v2, v6, v9 :: v_dual_cndmask_b32 v1, v5, v8
	v_cmpx_lt_i32_e32 47, v7
	s_xor_b32 s3, exec_lo, s1
	s_cbranch_execnz .LBB0_74
; %bb.69:
	s_or_saveexec_b32 s1, s3
	s_mov_b32 s3, 0
	s_xor_b32 exec_lo, exec_lo, s1
	s_cbranch_execnz .LBB0_91
.LBB0_70:
	s_or_b32 exec_lo, exec_lo, s1
	v_sub_nc_u32_e32 v5, 64, v7
	s_and_saveexec_b32 s6, s0
	s_cbranch_execnz .LBB0_96
.LBB0_71:
	s_or_b32 exec_lo, exec_lo, s6
	s_mov_b32 s0, 0
	s_and_saveexec_b32 s1, s2
	s_cbranch_execnz .LBB0_97
.LBB0_72:
	s_or_b32 exec_lo, exec_lo, s1
	s_and_saveexec_b32 s1, s3
	s_cbranch_execnz .LBB0_98
.LBB0_73:
	s_or_b32 exec_lo, exec_lo, s1
	s_and_saveexec_b32 s2, s0
	s_cbranch_execnz .LBB0_99
	s_branch .LBB0_102
.LBB0_74:
                                        ; implicit-def: $vgpr3_vgpr4
	s_mov_b32 s0, exec_lo
	v_cmpx_lt_i32_e32 0x47, v7
	s_xor_b32 s6, exec_lo, s0
	s_cbranch_execz .LBB0_84
; %bb.75:
	s_mov_b32 s0, 0
	s_mov_b32 s1, exec_lo
	v_cmpx_lt_i32_e32 0x53, v7
	s_xor_b32 s1, exec_lo, s1
; %bb.76:
	v_cmp_eq_u32_e32 vcc_lo, 0x54, v7
	s_and_b32 s0, vcc_lo, exec_lo
; %bb.77:
	s_and_not1_saveexec_b32 s1, s1
; %bb.78:
	v_cmp_eq_u32_e32 vcc_lo, 0x48, v7
	s_and_not1_b32 s0, s0, exec_lo
	s_and_b32 s7, vcc_lo, exec_lo
	s_delay_alu instid0(SALU_CYCLE_1)
	s_or_b32 s0, s0, s7
; %bb.79:
	s_or_b32 exec_lo, exec_lo, s1
	v_dual_mov_b32 v4, v2 :: v_dual_mov_b32 v3, v1
	s_and_saveexec_b32 s7, s0
	s_cbranch_execz .LBB0_83
; %bb.80:
	v_subrev_nc_u32_e32 v3, 64, v7
	v_sub_nc_u32_e32 v6, 0x60, v7
	s_delay_alu instid0(VALU_DEP_2) | instskip(NEXT) | instid1(VALU_DEP_2)
	v_lshlrev_b64 v[4:5], v3, v[1:2]
	v_lshrrev_b64 v[5:6], v6, v[1:2]
	v_sub_nc_u32_e32 v6, 0x80, v7
	s_delay_alu instid0(VALU_DEP_3) | instskip(SKIP_1) | instid1(VALU_DEP_2)
	v_sub_nc_u32_e32 v3, 0, v4
	v_cmp_eq_u32_e32 vcc_lo, 0, v4
	v_sub_nc_u32_e32 v8, v3, v5
	v_cmp_lt_u32_e64 s0, v3, v5
	v_lshrrev_b64 v[5:6], v6, v[1:2]
	s_delay_alu instid0(VALU_DEP_3) | instskip(NEXT) | instid1(VALU_DEP_3)
	v_cmp_eq_u32_e64 s1, -1, v8
	s_and_b32 vcc_lo, s0, vcc_lo
	s_delay_alu instid0(SALU_CYCLE_1) | instskip(NEXT) | instid1(VALU_DEP_2)
	v_add_co_ci_u32_e64 v3, s0, 0, v8, vcc_lo
	v_cndmask_b32_e64 v9, -2, -1, s1
	s_delay_alu instid0(VALU_DEP_1) | instskip(NEXT) | instid1(VALU_DEP_1)
	v_cndmask_b32_e32 v4, v4, v9, vcc_lo
	v_cmp_lt_u32_e32 vcc_lo, v4, v5
	v_sub_nc_u32_e32 v4, v4, v5
	s_and_saveexec_b32 s0, vcc_lo
; %bb.81:
	s_delay_alu instid0(VALU_DEP_1) | instskip(SKIP_1) | instid1(VALU_DEP_2)
	v_add_nc_u32_e32 v5, -1, v4
	v_add_co_u32 v3, vcc_lo, v3, 1
	v_cndmask_b32_e32 v4, v5, v4, vcc_lo
; %bb.82:
	s_or_b32 exec_lo, exec_lo, s0
.LBB0_83:
	s_delay_alu instid0(SALU_CYCLE_1)
	s_or_b32 exec_lo, exec_lo, s7
.LBB0_84:
	s_or_saveexec_b32 s0, s6
	s_mov_b32 s1, 0
	s_xor_b32 exec_lo, exec_lo, s0
	s_cbranch_execz .LBB0_90
; %bb.85:
	s_mov_b32 s6, exec_lo
	v_cmpx_lt_i32_e32 59, v7
	s_xor_b32 s6, exec_lo, s6
; %bb.86:
	v_cmp_eq_u32_e32 vcc_lo, 60, v7
	s_and_b32 s1, vcc_lo, exec_lo
; %bb.87:
	s_and_not1_saveexec_b32 s6, s6
; %bb.88:
	v_cmp_eq_u32_e32 vcc_lo, 48, v7
	s_and_not1_b32 s1, s1, exec_lo
	s_and_b32 s7, vcc_lo, exec_lo
	s_delay_alu instid0(SALU_CYCLE_1)
	s_or_b32 s1, s1, s7
; %bb.89:
	s_or_b32 exec_lo, exec_lo, s6
	v_dual_mov_b32 v4, v2 :: v_dual_mov_b32 v3, v1
	s_and_b32 s1, s1, exec_lo
.LBB0_90:
	s_or_b32 exec_lo, exec_lo, s0
	s_delay_alu instid0(SALU_CYCLE_1)
	s_and_b32 s0, s1, exec_lo
	s_or_saveexec_b32 s1, s3
	s_mov_b32 s3, 0
	s_xor_b32 exec_lo, exec_lo, s1
	s_cbranch_execz .LBB0_70
.LBB0_91:
	s_mov_b32 s7, 0
	s_mov_b32 s6, -1
	s_mov_b32 s8, s0
	s_mov_b32 s2, exec_lo
                                        ; implicit-def: $vgpr3_vgpr4
	v_cmpx_lt_i32_e32 23, v7
	s_cbranch_execz .LBB0_95
; %bb.92:
	s_mov_b32 s3, -1
	s_mov_b32 s7, s0
	s_mov_b32 s6, exec_lo
	v_cmpx_lt_i32_e32 35, v7
; %bb.93:
	v_cmp_eq_u32_e32 vcc_lo, 36, v7
	s_and_not1_b32 s7, s0, exec_lo
	s_xor_b32 s3, exec_lo, -1
	s_and_b32 s8, vcc_lo, exec_lo
	s_delay_alu instid0(SALU_CYCLE_1)
	s_or_b32 s7, s7, s8
; %bb.94:
	s_or_b32 exec_lo, exec_lo, s6
	v_dual_mov_b32 v4, v2 :: v_dual_mov_b32 v3, v1
	s_and_not1_b32 s8, s0, exec_lo
	s_and_b32 s9, s7, exec_lo
	s_xor_b32 s6, exec_lo, -1
	s_and_b32 s7, s3, exec_lo
	s_or_b32 s8, s8, s9
.LBB0_95:
	s_or_b32 exec_lo, exec_lo, s2
	s_delay_alu instid0(SALU_CYCLE_1)
	s_and_b32 s3, s6, exec_lo
	s_and_not1_b32 s0, s0, exec_lo
	s_and_b32 s6, s8, exec_lo
	s_and_b32 s2, s7, exec_lo
	s_or_b32 s0, s0, s6
	s_or_b32 exec_lo, exec_lo, s1
	v_sub_nc_u32_e32 v5, 64, v7
	s_and_saveexec_b32 s6, s0
	s_cbranch_execz .LBB0_71
.LBB0_96:
	v_subrev_nc_u32_e32 v6, 32, v7
	s_delay_alu instid0(VALU_DEP_2) | instskip(SKIP_2) | instid1(VALU_DEP_3)
	v_lshrrev_b64 v[3:4], v5, v[1:2]
	s_mov_b64 s[8:9], 0xffffffff
	v_sub_nc_u32_e32 v10, 0x60, v7
	v_lshlrev_b64 v[8:9], v6, v[1:2]
	s_delay_alu instid0(VALU_DEP_3) | instskip(SKIP_1) | instid1(VALU_DEP_3)
	v_cmp_eq_u32_e32 vcc_lo, 0, v3
	v_not_b32_e32 v11, v3
	v_add_co_u32 v8, s0, v3, v8
	s_delay_alu instid0(VALU_DEP_1) | instskip(NEXT) | instid1(VALU_DEP_2)
	v_add_co_ci_u32_e64 v9, null, 0, 0, s0
	v_cmp_ne_u32_e64 s0, 0, v8
	s_delay_alu instid0(VALU_DEP_2) | instskip(SKIP_1) | instid1(VALU_DEP_3)
	v_cmp_lt_u64_e64 s1, s[8:9], v[8:9]
	v_sub_nc_u32_e32 v9, 0, v3
	s_or_b32 s0, vcc_lo, s0
	s_delay_alu instid0(SALU_CYCLE_1) | instskip(NEXT) | instid1(VALU_DEP_1)
	v_cndmask_b32_e64 v6, -1, v8, s0
	v_add_nc_u32_e32 v4, 1, v6
	s_delay_alu instid0(VALU_DEP_1) | instskip(SKIP_2) | instid1(VALU_DEP_2)
	v_cndmask_b32_e32 v8, v4, v8, vcc_lo
	s_and_b32 vcc_lo, s0, s1
	v_lshrrev_b64 v[3:4], v10, v[1:2]
	v_cndmask_b32_e32 v4, v6, v8, vcc_lo
	v_cndmask_b32_e32 v6, v9, v11, vcc_lo
	s_delay_alu instid0(VALU_DEP_2) | instskip(NEXT) | instid1(VALU_DEP_2)
	v_cmp_eq_u32_e64 s0, 0, v4
	v_sub_nc_u32_e32 v8, v6, v3
	v_cmp_lt_u32_e32 vcc_lo, v6, v3
	s_delay_alu instid0(VALU_DEP_2) | instskip(NEXT) | instid1(VALU_DEP_1)
	v_add_co_u32 v3, s1, v8, 1
	v_cndmask_b32_e64 v6, -2, -1, s1
	s_and_b32 vcc_lo, vcc_lo, s0
	s_delay_alu instid0(VALU_DEP_2) | instskip(NEXT) | instid1(VALU_DEP_2)
	v_cndmask_b32_e32 v3, v8, v3, vcc_lo
	v_cndmask_b32_e32 v4, v4, v6, vcc_lo
	s_or_b32 exec_lo, exec_lo, s6
	s_mov_b32 s0, 0
	s_and_saveexec_b32 s1, s2
	s_cbranch_execz .LBB0_72
.LBB0_97:
	v_cmp_eq_u32_e32 vcc_lo, 24, v7
	v_dual_mov_b32 v4, v2 :: v_dual_mov_b32 v3, v1
	s_and_b32 s0, vcc_lo, exec_lo
	s_or_b32 exec_lo, exec_lo, s1
	s_and_saveexec_b32 s1, s3
	s_cbranch_execz .LBB0_73
.LBB0_98:
	v_cmp_eq_u32_e32 vcc_lo, 12, v7
	v_dual_mov_b32 v4, v2 :: v_dual_mov_b32 v3, v1
	s_and_not1_b32 s0, s0, exec_lo
	s_and_b32 s2, vcc_lo, exec_lo
	s_delay_alu instid0(SALU_CYCLE_1)
	s_or_b32 s0, s0, s2
	s_or_b32 exec_lo, exec_lo, s1
	s_and_saveexec_b32 s2, s0
	s_cbranch_execz .LBB0_102
.LBB0_99:
	v_sub_nc_u32_e32 v3, 32, v7
	v_lshrrev_b64 v[5:6], v5, v[1:2]
	s_mov_b64 s[6:7], 0xffffffff
	s_delay_alu instid0(VALU_DEP_2) | instskip(SKIP_1) | instid1(VALU_DEP_2)
	v_lshrrev_b64 v[3:4], v3, v[1:2]
	v_lshlrev_b64 v[1:2], v7, v[1:2]
	v_add_co_u32 v2, vcc_lo, v3, v5
	s_delay_alu instid0(VALU_DEP_4) | instskip(NEXT) | instid1(VALU_DEP_3)
	v_add_co_ci_u32_e32 v3, vcc_lo, 0, v6, vcc_lo
	v_cmp_ge_u32_e64 s0, v1, v5
	s_delay_alu instid0(VALU_DEP_3) | instskip(NEXT) | instid1(VALU_DEP_3)
	v_cmp_ne_u32_e32 vcc_lo, 0, v2
	v_cmp_lt_u64_e64 s1, s[6:7], v[2:3]
	v_sub_nc_u32_e32 v3, v1, v5
	s_delay_alu instid0(VALU_DEP_4) | instskip(SKIP_1) | instid1(VALU_DEP_3)
	s_or_b32 vcc_lo, s0, vcc_lo
	v_cndmask_b32_e32 v4, -1, v2, vcc_lo
	s_and_b32 s1, vcc_lo, s1
	s_delay_alu instid0(SALU_CYCLE_1)
	s_and_saveexec_b32 s0, s1
; %bb.100:
	s_delay_alu instid0(VALU_DEP_1) | instskip(SKIP_1) | instid1(VALU_DEP_2)
	v_add_nc_u32_e32 v2, 1, v4
	v_cmp_eq_u32_e32 vcc_lo, v1, v5
	v_dual_cndmask_b32 v4, v2, v4 :: v_dual_add_nc_u32 v3, -1, v3
; %bb.101:
	s_or_b32 exec_lo, exec_lo, s0
.LBB0_102:
	s_delay_alu instid0(SALU_CYCLE_1)
	s_or_b32 exec_lo, exec_lo, s2
	v_and_b32_e32 v22, 7, v0
	s_mov_b32 s2, 1
	v_add_co_u32 v0, vcc_lo, v3, -1
	s_mov_b32 s3, -1
	v_add_co_ci_u32_e32 v1, vcc_lo, 0, v4, vcc_lo
	v_cmp_lt_u64_e32 vcc_lo, s[2:3], v[3:4]
	v_and_b32_e32 v23, 0x1c0, v27
	s_mov_b32 s0, 0
	s_mov_b32 s1, s3
	v_mov_b32_e32 v20, 0
	s_mov_b32 s6, exec_lo
	v_dual_cndmask_b32 v0, v3, v0 :: v_dual_cndmask_b32 v1, v4, v1
	v_or_b32_e32 v2, v22, v23
	ds_store_b64 v28, v[0:1] offset:56
	v_lshlrev_b32_e32 v2, 3, v2
	s_waitcnt lgkmcnt(0)
	s_barrier
	buffer_gl0_inv
	ds_load_2addr_b64 v[12:15], v2 offset1:8
	s_waitcnt lgkmcnt(0)
	v_add_co_u32 v0, vcc_lo, v14, v12
	v_add_co_ci_u32_e32 v1, vcc_lo, v15, v13, vcc_lo
	s_delay_alu instid0(VALU_DEP_2) | instskip(NEXT) | instid1(VALU_DEP_2)
	v_add_co_u32 v3, vcc_lo, v0, -1
	v_add_co_ci_u32_e32 v4, vcc_lo, 0, v1, vcc_lo
	v_cmp_lt_u64_e32 vcc_lo, v[0:1], v[14:15]
	s_delay_alu instid0(VALU_DEP_2) | instskip(NEXT) | instid1(VALU_DEP_1)
	v_dual_cndmask_b32 v1, v1, v4 :: v_dual_cndmask_b32 v0, v0, v3
	v_add_co_u32 v3, vcc_lo, v0, -1
	s_delay_alu instid0(VALU_DEP_2) | instskip(SKIP_1) | instid1(VALU_DEP_2)
	v_add_co_ci_u32_e32 v4, vcc_lo, 0, v1, vcc_lo
	v_cmp_lt_u64_e32 vcc_lo, s[0:1], v[0:1]
	v_dual_cndmask_b32 v17, v1, v4 :: v_dual_cndmask_b32 v16, v0, v3
	ds_load_2addr_b64 v[8:11], v2 offset0:16 offset1:24
	ds_load_2addr_b64 v[4:7], v2 offset0:32 offset1:40
	;; [unrolled: 1-line block ×3, first 2 shown]
	v_add_co_u32 v18, vcc_lo, v16, -1
	v_add_co_ci_u32_e32 v19, vcc_lo, 0, v17, vcc_lo
	v_cmp_lt_u64_e32 vcc_lo, s[0:1], v[16:17]
	s_delay_alu instid0(VALU_DEP_2) | instskip(NEXT) | instid1(VALU_DEP_1)
	v_dual_cndmask_b32 v17, v17, v19 :: v_dual_cndmask_b32 v16, v16, v18
	v_cmpx_ne_u64_e32 0, v[16:17]
	s_cbranch_execz .LBB0_129
; %bb.103:
	s_mov_b32 s0, 0x10001
	s_mov_b32 s1, 0xfffeffff
	s_movk_i32 s7, 0xffc0
	v_cmp_lt_u64_e32 vcc_lo, s[0:1], v[16:17]
	v_cmp_gt_u64_e64 s0, s[0:1], v[16:17]
	v_mov_b32_e32 v20, 0
	v_mov_b32_e32 v21, 0
	v_cndmask_b32_e32 v25, 0x10001, v16, vcc_lo
	v_cndmask_b32_e32 v24, 0xfffeffff, v17, vcc_lo
	v_cndmask_b32_e64 v17, 0xfffeffff, v17, s0
	v_cndmask_b32_e64 v16, 0x10001, v16, s0
	s_mov_b64 s[0:1], 60
	v_add_co_u32 v26, vcc_lo, v25, -1
	v_not_b32_e32 v19, v24
	v_not_b32_e32 v18, v25
	v_add_co_ci_u32_e32 v27, vcc_lo, 0, v24, vcc_lo
	s_branch .LBB0_106
.LBB0_104:                              ;   in Loop: Header=BB0_106 Depth=1
	s_or_b32 exec_lo, exec_lo, s9
.LBB0_105:                              ;   in Loop: Header=BB0_106 Depth=1
	s_delay_alu instid0(SALU_CYCLE_1) | instskip(NEXT) | instid1(VALU_DEP_2)
	s_or_b32 exec_lo, exec_lo, s8
	v_add_co_u32 v28, vcc_lo, v20, -1
	v_add_co_ci_u32_e32 v29, vcc_lo, 0, v21, vcc_lo
	v_cmp_gt_u64_e32 vcc_lo, s[2:3], v[20:21]
	s_add_i32 s7, s7, 4
	s_add_u32 s0, s0, -4
	s_addc_u32 s1, s1, -1
	s_cmp_lg_u32 s7, 0
	v_dual_cndmask_b32 v21, v29, v21 :: v_dual_cndmask_b32 v20, v28, v20
	s_cbranch_scc0 .LBB0_129
.LBB0_106:                              ; =>This Inner Loop Header: Depth=1
	s_delay_alu instid0(VALU_DEP_1) | instskip(SKIP_1) | instid1(SALU_CYCLE_1)
	v_lshlrev_b64 v[28:29], 1, v[20:21]
	s_add_i32 s8, s0, 3
	v_lshrrev_b64 v[30:31], s8, v[16:17]
	s_mov_b32 s8, exec_lo
	s_delay_alu instid0(VALU_DEP_2) | instskip(NEXT) | instid1(VALU_DEP_3)
	v_add_co_u32 v31, vcc_lo, v28, -1
	v_add_co_ci_u32_e32 v32, vcc_lo, 0, v29, vcc_lo
	v_cmp_gt_i64_e32 vcc_lo, 0, v[20:21]
	s_delay_alu instid0(VALU_DEP_2) | instskip(NEXT) | instid1(VALU_DEP_4)
	v_dual_cndmask_b32 v21, v29, v32 :: v_dual_and_b32 v30, 1, v30
	v_cndmask_b32_e32 v20, v28, v31, vcc_lo
	s_delay_alu instid0(VALU_DEP_2)
	v_cmpx_eq_u32_e32 1, v30
	s_cbranch_execz .LBB0_112
; %bb.107:                              ;   in Loop: Header=BB0_106 Depth=1
	s_mov_b32 s9, exec_lo
	s_delay_alu instid0(VALU_DEP_2)
	v_cmpx_le_u64_e64 v[20:21], v[18:19]
	s_xor_b32 s9, exec_lo, s9
; %bb.108:                              ;   in Loop: Header=BB0_106 Depth=1
	v_add_co_u32 v20, vcc_lo, v20, v25
	v_add_co_ci_u32_e32 v21, vcc_lo, v21, v24, vcc_lo
; %bb.109:                              ;   in Loop: Header=BB0_106 Depth=1
	s_and_not1_saveexec_b32 s9, s9
; %bb.110:                              ;   in Loop: Header=BB0_106 Depth=1
	s_delay_alu instid0(VALU_DEP_2) | instskip(NEXT) | instid1(VALU_DEP_2)
	v_add_co_u32 v20, vcc_lo, v26, v20
	v_add_co_ci_u32_e32 v21, vcc_lo, v27, v21, vcc_lo
; %bb.111:                              ;   in Loop: Header=BB0_106 Depth=1
	s_or_b32 exec_lo, exec_lo, s9
.LBB0_112:                              ;   in Loop: Header=BB0_106 Depth=1
	s_delay_alu instid0(SALU_CYCLE_1) | instskip(NEXT) | instid1(VALU_DEP_2)
	s_or_b32 exec_lo, exec_lo, s8
	v_add_co_u32 v28, vcc_lo, v20, -1
	s_delay_alu instid0(VALU_DEP_2) | instskip(SKIP_2) | instid1(SALU_CYCLE_1)
	v_add_co_ci_u32_e32 v29, vcc_lo, 0, v21, vcc_lo
	v_cmp_gt_u64_e32 vcc_lo, s[2:3], v[20:21]
	s_add_i32 s8, s0, 2
	v_lshrrev_b64 v[30:31], s8, v[16:17]
	s_mov_b32 s8, exec_lo
	v_dual_cndmask_b32 v21, v29, v21 :: v_dual_cndmask_b32 v20, v28, v20
	s_delay_alu instid0(VALU_DEP_1) | instskip(NEXT) | instid1(VALU_DEP_1)
	v_lshlrev_b64 v[28:29], 1, v[20:21]
	v_add_co_u32 v31, vcc_lo, v28, -1
	s_delay_alu instid0(VALU_DEP_2) | instskip(SKIP_1) | instid1(VALU_DEP_2)
	v_add_co_ci_u32_e32 v32, vcc_lo, 0, v29, vcc_lo
	v_cmp_gt_i64_e32 vcc_lo, 0, v[20:21]
	v_dual_cndmask_b32 v21, v29, v32 :: v_dual_and_b32 v30, 1, v30
	s_delay_alu instid0(VALU_DEP_4) | instskip(NEXT) | instid1(VALU_DEP_2)
	v_cndmask_b32_e32 v20, v28, v31, vcc_lo
	v_cmpx_eq_u32_e32 1, v30
	s_cbranch_execz .LBB0_118
; %bb.113:                              ;   in Loop: Header=BB0_106 Depth=1
	s_mov_b32 s9, exec_lo
	s_delay_alu instid0(VALU_DEP_2)
	v_cmpx_le_u64_e64 v[20:21], v[18:19]
	s_xor_b32 s9, exec_lo, s9
; %bb.114:                              ;   in Loop: Header=BB0_106 Depth=1
	v_add_co_u32 v20, vcc_lo, v20, v25
	v_add_co_ci_u32_e32 v21, vcc_lo, v21, v24, vcc_lo
; %bb.115:                              ;   in Loop: Header=BB0_106 Depth=1
	s_and_not1_saveexec_b32 s9, s9
; %bb.116:                              ;   in Loop: Header=BB0_106 Depth=1
	s_delay_alu instid0(VALU_DEP_2) | instskip(NEXT) | instid1(VALU_DEP_2)
	v_add_co_u32 v20, vcc_lo, v26, v20
	v_add_co_ci_u32_e32 v21, vcc_lo, v27, v21, vcc_lo
; %bb.117:                              ;   in Loop: Header=BB0_106 Depth=1
	s_or_b32 exec_lo, exec_lo, s9
.LBB0_118:                              ;   in Loop: Header=BB0_106 Depth=1
	s_delay_alu instid0(SALU_CYCLE_1) | instskip(NEXT) | instid1(VALU_DEP_2)
	s_or_b32 exec_lo, exec_lo, s8
	v_add_co_u32 v28, vcc_lo, v20, -1
	s_delay_alu instid0(VALU_DEP_2) | instskip(SKIP_2) | instid1(SALU_CYCLE_1)
	v_add_co_ci_u32_e32 v29, vcc_lo, 0, v21, vcc_lo
	v_cmp_gt_u64_e32 vcc_lo, s[2:3], v[20:21]
	s_add_i32 s8, s0, 1
	v_lshrrev_b64 v[30:31], s8, v[16:17]
	s_mov_b32 s8, exec_lo
	v_dual_cndmask_b32 v21, v29, v21 :: v_dual_cndmask_b32 v20, v28, v20
	s_delay_alu instid0(VALU_DEP_1) | instskip(NEXT) | instid1(VALU_DEP_1)
	v_lshlrev_b64 v[28:29], 1, v[20:21]
	v_add_co_u32 v31, vcc_lo, v28, -1
	s_delay_alu instid0(VALU_DEP_2) | instskip(SKIP_1) | instid1(VALU_DEP_2)
	v_add_co_ci_u32_e32 v32, vcc_lo, 0, v29, vcc_lo
	v_cmp_gt_i64_e32 vcc_lo, 0, v[20:21]
	v_dual_cndmask_b32 v21, v29, v32 :: v_dual_and_b32 v30, 1, v30
	s_delay_alu instid0(VALU_DEP_4) | instskip(NEXT) | instid1(VALU_DEP_2)
	v_cndmask_b32_e32 v20, v28, v31, vcc_lo
	v_cmpx_eq_u32_e32 1, v30
	s_cbranch_execz .LBB0_124
; %bb.119:                              ;   in Loop: Header=BB0_106 Depth=1
	s_mov_b32 s9, exec_lo
	s_delay_alu instid0(VALU_DEP_2)
	v_cmpx_le_u64_e64 v[20:21], v[18:19]
	s_xor_b32 s9, exec_lo, s9
; %bb.120:                              ;   in Loop: Header=BB0_106 Depth=1
	v_add_co_u32 v20, vcc_lo, v20, v25
	v_add_co_ci_u32_e32 v21, vcc_lo, v21, v24, vcc_lo
; %bb.121:                              ;   in Loop: Header=BB0_106 Depth=1
	s_and_not1_saveexec_b32 s9, s9
; %bb.122:                              ;   in Loop: Header=BB0_106 Depth=1
	s_delay_alu instid0(VALU_DEP_2) | instskip(NEXT) | instid1(VALU_DEP_2)
	v_add_co_u32 v20, vcc_lo, v26, v20
	v_add_co_ci_u32_e32 v21, vcc_lo, v27, v21, vcc_lo
; %bb.123:                              ;   in Loop: Header=BB0_106 Depth=1
	s_or_b32 exec_lo, exec_lo, s9
.LBB0_124:                              ;   in Loop: Header=BB0_106 Depth=1
	s_delay_alu instid0(SALU_CYCLE_1) | instskip(NEXT) | instid1(VALU_DEP_2)
	s_or_b32 exec_lo, exec_lo, s8
	v_add_co_u32 v28, vcc_lo, v20, -1
	s_delay_alu instid0(VALU_DEP_2) | instskip(SKIP_3) | instid1(VALU_DEP_3)
	v_add_co_ci_u32_e32 v29, vcc_lo, 0, v21, vcc_lo
	v_cmp_gt_u64_e32 vcc_lo, s[2:3], v[20:21]
	v_lshrrev_b64 v[30:31], s0, v[16:17]
	s_mov_b32 s8, exec_lo
	v_dual_cndmask_b32 v21, v29, v21 :: v_dual_cndmask_b32 v20, v28, v20
	s_delay_alu instid0(VALU_DEP_1) | instskip(NEXT) | instid1(VALU_DEP_1)
	v_lshlrev_b64 v[28:29], 1, v[20:21]
	v_add_co_u32 v31, vcc_lo, v28, -1
	s_delay_alu instid0(VALU_DEP_2) | instskip(SKIP_1) | instid1(VALU_DEP_2)
	v_add_co_ci_u32_e32 v32, vcc_lo, 0, v29, vcc_lo
	v_cmp_gt_i64_e32 vcc_lo, 0, v[20:21]
	v_dual_cndmask_b32 v21, v29, v32 :: v_dual_and_b32 v30, 1, v30
	s_delay_alu instid0(VALU_DEP_4) | instskip(NEXT) | instid1(VALU_DEP_2)
	v_cndmask_b32_e32 v20, v28, v31, vcc_lo
	v_cmpx_eq_u32_e32 1, v30
	s_cbranch_execz .LBB0_105
; %bb.125:                              ;   in Loop: Header=BB0_106 Depth=1
	s_mov_b32 s9, exec_lo
	s_delay_alu instid0(VALU_DEP_2)
	v_cmpx_le_u64_e64 v[20:21], v[18:19]
	s_xor_b32 s9, exec_lo, s9
; %bb.126:                              ;   in Loop: Header=BB0_106 Depth=1
	v_add_co_u32 v20, vcc_lo, v20, v25
	v_add_co_ci_u32_e32 v21, vcc_lo, v21, v24, vcc_lo
; %bb.127:                              ;   in Loop: Header=BB0_106 Depth=1
	s_and_not1_saveexec_b32 s9, s9
	s_cbranch_execz .LBB0_104
; %bb.128:                              ;   in Loop: Header=BB0_106 Depth=1
	s_delay_alu instid0(VALU_DEP_2) | instskip(NEXT) | instid1(VALU_DEP_2)
	v_add_co_u32 v20, vcc_lo, v26, v20
	v_add_co_ci_u32_e32 v21, vcc_lo, v27, v21, vcc_lo
	s_branch .LBB0_104
.LBB0_129:
	s_or_b32 exec_lo, exec_lo, s6
	v_sub_co_u32 v16, vcc_lo, v12, v14
	v_sub_co_ci_u32_e32 v17, vcc_lo, v13, v15, vcc_lo
	s_mov_b32 s2, 1
	s_delay_alu instid0(VALU_DEP_2) | instskip(NEXT) | instid1(VALU_DEP_2)
	v_add_co_u32 v18, vcc_lo, v16, 1
	v_add_co_ci_u32_e32 v19, vcc_lo, -1, v17, vcc_lo
	v_cmp_lt_u64_e32 vcc_lo, v[12:13], v[14:15]
	v_or_b32_e32 v14, s12, v23
	s_mov_b32 s3, -1
	s_mov_b32 s0, 0
	s_mov_b32 s1, s3
	s_mov_b32 s6, exec_lo
	v_dual_cndmask_b32 v13, v17, v19 :: v_dual_cndmask_b32 v12, v16, v18
	v_lshlrev_b32_e32 v19, 12, v22
	v_lshrrev_b32_e32 v21, 4, v14
	s_delay_alu instid0(VALU_DEP_3) | instskip(NEXT) | instid1(VALU_DEP_4)
	v_add_co_u32 v14, vcc_lo, v12, -1
	v_add_co_ci_u32_e32 v15, vcc_lo, 0, v13, vcc_lo
	v_cmp_lt_u64_e32 vcc_lo, s[0:1], v[12:13]
	s_delay_alu instid0(VALU_DEP_4) | instskip(NEXT) | instid1(VALU_DEP_3)
	v_or_b32_e32 v16, v19, v21
	v_dual_cndmask_b32 v13, v13, v15 :: v_dual_cndmask_b32 v12, v12, v14
	s_delay_alu instid0(VALU_DEP_2)
	v_lshlrev_b32_e32 v14, 2, v16
	v_mov_b32_e32 v16, 0
	global_store_b32 v14, v20, s[4:5]
	v_cmpx_ne_u64_e32 0, v[12:13]
	s_cbranch_execz .LBB0_156
; %bb.130:
	s_mov_b32 s0, 0x10001
	s_mov_b32 s1, 0xfffeffff
	v_mov_b32_e32 v16, 0
	v_cmp_lt_u64_e32 vcc_lo, s[0:1], v[12:13]
	v_cmp_gt_u64_e64 s0, s[0:1], v[12:13]
	s_movk_i32 s7, 0xffc0
	v_dual_mov_b32 v17, 0 :: v_dual_cndmask_b32 v20, 0x10001, v12
	v_cndmask_b32_e32 v18, 0xfffeffff, v13, vcc_lo
	s_delay_alu instid0(VALU_DEP_3)
	v_cndmask_b32_e64 v13, 0xfffeffff, v13, s0
	v_cndmask_b32_e64 v12, 0x10001, v12, s0
	s_mov_b64 s[0:1], 60
	v_add_co_u32 v23, vcc_lo, v20, -1
	v_not_b32_e32 v15, v18
	v_not_b32_e32 v14, v20
	v_add_co_ci_u32_e32 v24, vcc_lo, 0, v18, vcc_lo
	s_branch .LBB0_133
.LBB0_131:                              ;   in Loop: Header=BB0_133 Depth=1
	s_or_b32 exec_lo, exec_lo, s9
.LBB0_132:                              ;   in Loop: Header=BB0_133 Depth=1
	s_delay_alu instid0(SALU_CYCLE_1)
	s_or_b32 exec_lo, exec_lo, s8
	v_add_co_u32 v25, vcc_lo, v16, -1
	v_add_co_ci_u32_e32 v26, vcc_lo, 0, v17, vcc_lo
	v_cmp_gt_u64_e32 vcc_lo, s[2:3], v[16:17]
	s_add_i32 s7, s7, 4
	s_add_u32 s0, s0, -4
	s_addc_u32 s1, s1, -1
	s_cmp_lg_u32 s7, 0
	v_dual_cndmask_b32 v17, v26, v17 :: v_dual_cndmask_b32 v16, v25, v16
	s_cbranch_scc0 .LBB0_156
.LBB0_133:                              ; =>This Inner Loop Header: Depth=1
	s_delay_alu instid0(VALU_DEP_1) | instskip(SKIP_1) | instid1(SALU_CYCLE_1)
	v_lshlrev_b64 v[25:26], 1, v[16:17]
	s_add_i32 s8, s0, 3
	v_lshrrev_b64 v[27:28], s8, v[12:13]
	s_mov_b32 s8, exec_lo
	s_delay_alu instid0(VALU_DEP_2) | instskip(NEXT) | instid1(VALU_DEP_3)
	v_add_co_u32 v28, vcc_lo, v25, -1
	v_add_co_ci_u32_e32 v29, vcc_lo, 0, v26, vcc_lo
	v_cmp_gt_i64_e32 vcc_lo, 0, v[16:17]
	s_delay_alu instid0(VALU_DEP_3) | instskip(NEXT) | instid1(VALU_DEP_3)
	v_dual_cndmask_b32 v16, v25, v28 :: v_dual_and_b32 v27, 1, v27
	v_cndmask_b32_e32 v17, v26, v29, vcc_lo
	s_delay_alu instid0(VALU_DEP_2)
	v_cmpx_eq_u32_e32 1, v27
	s_cbranch_execz .LBB0_139
; %bb.134:                              ;   in Loop: Header=BB0_133 Depth=1
	s_mov_b32 s9, exec_lo
	s_delay_alu instid0(VALU_DEP_2)
	v_cmpx_le_u64_e64 v[16:17], v[14:15]
	s_xor_b32 s9, exec_lo, s9
; %bb.135:                              ;   in Loop: Header=BB0_133 Depth=1
	v_add_co_u32 v16, vcc_lo, v16, v20
	v_add_co_ci_u32_e32 v17, vcc_lo, v17, v18, vcc_lo
; %bb.136:                              ;   in Loop: Header=BB0_133 Depth=1
	s_and_not1_saveexec_b32 s9, s9
; %bb.137:                              ;   in Loop: Header=BB0_133 Depth=1
	s_delay_alu instid0(VALU_DEP_2) | instskip(NEXT) | instid1(VALU_DEP_2)
	v_add_co_u32 v16, vcc_lo, v23, v16
	v_add_co_ci_u32_e32 v17, vcc_lo, v24, v17, vcc_lo
; %bb.138:                              ;   in Loop: Header=BB0_133 Depth=1
	s_or_b32 exec_lo, exec_lo, s9
.LBB0_139:                              ;   in Loop: Header=BB0_133 Depth=1
	s_delay_alu instid0(SALU_CYCLE_1) | instskip(NEXT) | instid1(VALU_DEP_2)
	s_or_b32 exec_lo, exec_lo, s8
	v_add_co_u32 v25, vcc_lo, v16, -1
	s_delay_alu instid0(VALU_DEP_2) | instskip(SKIP_2) | instid1(SALU_CYCLE_1)
	v_add_co_ci_u32_e32 v26, vcc_lo, 0, v17, vcc_lo
	v_cmp_gt_u64_e32 vcc_lo, s[2:3], v[16:17]
	s_add_i32 s8, s0, 2
	v_lshrrev_b64 v[27:28], s8, v[12:13]
	s_mov_b32 s8, exec_lo
	v_dual_cndmask_b32 v17, v26, v17 :: v_dual_cndmask_b32 v16, v25, v16
	s_delay_alu instid0(VALU_DEP_1) | instskip(NEXT) | instid1(VALU_DEP_1)
	v_lshlrev_b64 v[25:26], 1, v[16:17]
	v_add_co_u32 v28, vcc_lo, v25, -1
	s_delay_alu instid0(VALU_DEP_2) | instskip(SKIP_1) | instid1(VALU_DEP_3)
	v_add_co_ci_u32_e32 v29, vcc_lo, 0, v26, vcc_lo
	v_cmp_gt_i64_e32 vcc_lo, 0, v[16:17]
	v_dual_cndmask_b32 v16, v25, v28 :: v_dual_and_b32 v27, 1, v27
	s_delay_alu instid0(VALU_DEP_3) | instskip(NEXT) | instid1(VALU_DEP_2)
	v_cndmask_b32_e32 v17, v26, v29, vcc_lo
	v_cmpx_eq_u32_e32 1, v27
	s_cbranch_execz .LBB0_145
; %bb.140:                              ;   in Loop: Header=BB0_133 Depth=1
	s_mov_b32 s9, exec_lo
	s_delay_alu instid0(VALU_DEP_2)
	v_cmpx_le_u64_e64 v[16:17], v[14:15]
	s_xor_b32 s9, exec_lo, s9
; %bb.141:                              ;   in Loop: Header=BB0_133 Depth=1
	v_add_co_u32 v16, vcc_lo, v16, v20
	v_add_co_ci_u32_e32 v17, vcc_lo, v17, v18, vcc_lo
; %bb.142:                              ;   in Loop: Header=BB0_133 Depth=1
	s_and_not1_saveexec_b32 s9, s9
; %bb.143:                              ;   in Loop: Header=BB0_133 Depth=1
	s_delay_alu instid0(VALU_DEP_2) | instskip(NEXT) | instid1(VALU_DEP_2)
	v_add_co_u32 v16, vcc_lo, v23, v16
	v_add_co_ci_u32_e32 v17, vcc_lo, v24, v17, vcc_lo
; %bb.144:                              ;   in Loop: Header=BB0_133 Depth=1
	s_or_b32 exec_lo, exec_lo, s9
.LBB0_145:                              ;   in Loop: Header=BB0_133 Depth=1
	s_delay_alu instid0(SALU_CYCLE_1) | instskip(NEXT) | instid1(VALU_DEP_2)
	s_or_b32 exec_lo, exec_lo, s8
	v_add_co_u32 v25, vcc_lo, v16, -1
	s_delay_alu instid0(VALU_DEP_2) | instskip(SKIP_2) | instid1(SALU_CYCLE_1)
	v_add_co_ci_u32_e32 v26, vcc_lo, 0, v17, vcc_lo
	v_cmp_gt_u64_e32 vcc_lo, s[2:3], v[16:17]
	s_add_i32 s8, s0, 1
	v_lshrrev_b64 v[27:28], s8, v[12:13]
	s_mov_b32 s8, exec_lo
	v_dual_cndmask_b32 v17, v26, v17 :: v_dual_cndmask_b32 v16, v25, v16
	s_delay_alu instid0(VALU_DEP_1) | instskip(NEXT) | instid1(VALU_DEP_1)
	v_lshlrev_b64 v[25:26], 1, v[16:17]
	v_add_co_u32 v28, vcc_lo, v25, -1
	s_delay_alu instid0(VALU_DEP_2) | instskip(SKIP_1) | instid1(VALU_DEP_3)
	v_add_co_ci_u32_e32 v29, vcc_lo, 0, v26, vcc_lo
	v_cmp_gt_i64_e32 vcc_lo, 0, v[16:17]
	v_dual_cndmask_b32 v16, v25, v28 :: v_dual_and_b32 v27, 1, v27
	s_delay_alu instid0(VALU_DEP_3) | instskip(NEXT) | instid1(VALU_DEP_2)
	v_cndmask_b32_e32 v17, v26, v29, vcc_lo
	v_cmpx_eq_u32_e32 1, v27
	s_cbranch_execz .LBB0_151
; %bb.146:                              ;   in Loop: Header=BB0_133 Depth=1
	s_mov_b32 s9, exec_lo
	s_delay_alu instid0(VALU_DEP_2)
	v_cmpx_le_u64_e64 v[16:17], v[14:15]
	s_xor_b32 s9, exec_lo, s9
; %bb.147:                              ;   in Loop: Header=BB0_133 Depth=1
	v_add_co_u32 v16, vcc_lo, v16, v20
	v_add_co_ci_u32_e32 v17, vcc_lo, v17, v18, vcc_lo
; %bb.148:                              ;   in Loop: Header=BB0_133 Depth=1
	s_and_not1_saveexec_b32 s9, s9
; %bb.149:                              ;   in Loop: Header=BB0_133 Depth=1
	s_delay_alu instid0(VALU_DEP_2) | instskip(NEXT) | instid1(VALU_DEP_2)
	v_add_co_u32 v16, vcc_lo, v23, v16
	v_add_co_ci_u32_e32 v17, vcc_lo, v24, v17, vcc_lo
; %bb.150:                              ;   in Loop: Header=BB0_133 Depth=1
	s_or_b32 exec_lo, exec_lo, s9
.LBB0_151:                              ;   in Loop: Header=BB0_133 Depth=1
	s_delay_alu instid0(SALU_CYCLE_1) | instskip(NEXT) | instid1(VALU_DEP_2)
	s_or_b32 exec_lo, exec_lo, s8
	v_add_co_u32 v25, vcc_lo, v16, -1
	s_delay_alu instid0(VALU_DEP_2) | instskip(SKIP_3) | instid1(VALU_DEP_3)
	v_add_co_ci_u32_e32 v26, vcc_lo, 0, v17, vcc_lo
	v_cmp_gt_u64_e32 vcc_lo, s[2:3], v[16:17]
	v_lshrrev_b64 v[27:28], s0, v[12:13]
	s_mov_b32 s8, exec_lo
	v_dual_cndmask_b32 v17, v26, v17 :: v_dual_cndmask_b32 v16, v25, v16
	s_delay_alu instid0(VALU_DEP_1) | instskip(NEXT) | instid1(VALU_DEP_1)
	v_lshlrev_b64 v[25:26], 1, v[16:17]
	v_add_co_u32 v28, vcc_lo, v25, -1
	s_delay_alu instid0(VALU_DEP_2) | instskip(SKIP_1) | instid1(VALU_DEP_3)
	v_add_co_ci_u32_e32 v29, vcc_lo, 0, v26, vcc_lo
	v_cmp_gt_i64_e32 vcc_lo, 0, v[16:17]
	v_dual_cndmask_b32 v16, v25, v28 :: v_dual_and_b32 v27, 1, v27
	s_delay_alu instid0(VALU_DEP_3) | instskip(NEXT) | instid1(VALU_DEP_2)
	v_cndmask_b32_e32 v17, v26, v29, vcc_lo
	v_cmpx_eq_u32_e32 1, v27
	s_cbranch_execz .LBB0_132
; %bb.152:                              ;   in Loop: Header=BB0_133 Depth=1
	s_mov_b32 s9, exec_lo
	s_delay_alu instid0(VALU_DEP_2)
	v_cmpx_le_u64_e64 v[16:17], v[14:15]
	s_xor_b32 s9, exec_lo, s9
; %bb.153:                              ;   in Loop: Header=BB0_133 Depth=1
	v_add_co_u32 v16, vcc_lo, v16, v20
	v_add_co_ci_u32_e32 v17, vcc_lo, v17, v18, vcc_lo
; %bb.154:                              ;   in Loop: Header=BB0_133 Depth=1
	s_and_not1_saveexec_b32 s9, s9
	s_cbranch_execz .LBB0_131
; %bb.155:                              ;   in Loop: Header=BB0_133 Depth=1
	s_delay_alu instid0(VALU_DEP_2) | instskip(NEXT) | instid1(VALU_DEP_2)
	v_add_co_u32 v16, vcc_lo, v23, v16
	v_add_co_ci_u32_e32 v17, vcc_lo, v24, v17, vcc_lo
	s_branch .LBB0_131
.LBB0_156:
	s_or_b32 exec_lo, exec_lo, s6
	s_waitcnt lgkmcnt(2)
	v_add_co_u32 v12, vcc_lo, v10, v8
	v_add_co_ci_u32_e32 v13, vcc_lo, v11, v9, vcc_lo
	s_mov_b32 s1, -1
	s_delay_alu instid0(VALU_DEP_2) | instskip(NEXT) | instid1(VALU_DEP_2)
	v_add_co_u32 v14, vcc_lo, v12, -1
	v_add_co_ci_u32_e32 v15, vcc_lo, 0, v13, vcc_lo
	v_cmp_lt_u64_e32 vcc_lo, v[12:13], v[10:11]
	s_mov_b32 s0, 0
	s_mov_b32 s6, exec_lo
	s_delay_alu instid0(VALU_DEP_2) | instskip(NEXT) | instid1(VALU_DEP_1)
	v_dual_cndmask_b32 v13, v13, v15 :: v_dual_cndmask_b32 v12, v12, v14
	v_add_co_u32 v14, vcc_lo, v12, -1
	s_delay_alu instid0(VALU_DEP_2) | instskip(SKIP_1) | instid1(VALU_DEP_2)
	v_add_co_ci_u32_e32 v15, vcc_lo, 0, v13, vcc_lo
	v_cmp_lt_u64_e32 vcc_lo, s[0:1], v[12:13]
	v_dual_cndmask_b32 v13, v13, v15 :: v_dual_cndmask_b32 v12, v12, v14
	s_delay_alu instid0(VALU_DEP_1) | instskip(NEXT) | instid1(VALU_DEP_2)
	v_add_co_u32 v14, vcc_lo, v12, -1
	v_add_co_ci_u32_e32 v15, vcc_lo, 0, v13, vcc_lo
	v_cmp_lt_u64_e32 vcc_lo, s[0:1], v[12:13]
	v_lshlrev_b32_e32 v20, 14, v22
	s_delay_alu instid0(VALU_DEP_4) | instskip(NEXT) | instid1(VALU_DEP_4)
	v_dual_cndmask_b32 v12, v12, v14 :: v_dual_lshlrev_b32 v17, 2, v21
	v_cndmask_b32_e32 v13, v13, v15, vcc_lo
	s_delay_alu instid0(VALU_DEP_2)
	v_or3_b32 v14, v20, v17, 0x20000
	v_mov_b32_e32 v17, 0
	global_store_b32 v14, v16, s[4:5]
	v_cmpx_ne_u64_e32 0, v[12:13]
	s_cbranch_execz .LBB0_183
; %bb.157:
	s_mov_b32 s2, 0x10001
	s_mov_b32 s3, 0xfffeffff
	s_movk_i32 s7, 0xffc0
	v_cmp_lt_u64_e32 vcc_lo, s[2:3], v[12:13]
	v_cmp_gt_u64_e64 s0, s[2:3], v[12:13]
	s_mov_b64 s[2:3], 60
	v_mov_b32_e32 v17, 0
	v_dual_mov_b32 v18, 0 :: v_dual_cndmask_b32 v23, 0x10001, v12
	v_cndmask_b32_e32 v22, 0xfffeffff, v13, vcc_lo
	s_delay_alu instid0(VALU_DEP_4)
	v_cndmask_b32_e64 v13, 0xfffeffff, v13, s0
	v_cndmask_b32_e64 v12, 0x10001, v12, s0
	s_mov_b32 s0, 1
	v_add_co_u32 v24, vcc_lo, v23, -1
	v_not_b32_e32 v15, v22
	v_not_b32_e32 v14, v23
	v_add_co_ci_u32_e32 v25, vcc_lo, 0, v22, vcc_lo
	s_branch .LBB0_160
.LBB0_158:                              ;   in Loop: Header=BB0_160 Depth=1
	s_or_b32 exec_lo, exec_lo, s9
.LBB0_159:                              ;   in Loop: Header=BB0_160 Depth=1
	s_delay_alu instid0(SALU_CYCLE_1) | instskip(NEXT) | instid1(VALU_DEP_2)
	s_or_b32 exec_lo, exec_lo, s8
	v_add_co_u32 v26, vcc_lo, v16, -1
	v_add_co_ci_u32_e32 v18, vcc_lo, 0, v17, vcc_lo
	v_cmp_gt_u64_e32 vcc_lo, s[0:1], v[16:17]
	s_add_i32 s7, s7, 4
	s_add_u32 s2, s2, -4
	s_addc_u32 s3, s3, -1
	s_cmp_lg_u32 s7, 0
	v_cndmask_b32_e32 v18, v18, v17, vcc_lo
	v_cndmask_b32_e32 v17, v26, v16, vcc_lo
	s_cbranch_scc0 .LBB0_183
.LBB0_160:                              ; =>This Inner Loop Header: Depth=1
	s_delay_alu instid0(VALU_DEP_1) | instskip(SKIP_1) | instid1(SALU_CYCLE_1)
	v_lshlrev_b64 v[26:27], 1, v[17:18]
	s_add_i32 s8, s2, 3
	v_lshrrev_b64 v[28:29], s8, v[12:13]
	s_mov_b32 s8, exec_lo
	s_delay_alu instid0(VALU_DEP_2) | instskip(NEXT) | instid1(VALU_DEP_3)
	v_add_co_u32 v16, vcc_lo, v26, -1
	v_add_co_ci_u32_e32 v29, vcc_lo, 0, v27, vcc_lo
	v_cmp_gt_i64_e32 vcc_lo, 0, v[17:18]
	s_delay_alu instid0(VALU_DEP_2) | instskip(NEXT) | instid1(VALU_DEP_4)
	v_dual_cndmask_b32 v17, v27, v29 :: v_dual_and_b32 v18, 1, v28
	v_cndmask_b32_e32 v16, v26, v16, vcc_lo
	s_delay_alu instid0(VALU_DEP_2)
	v_cmpx_eq_u32_e32 1, v18
	s_cbranch_execz .LBB0_166
; %bb.161:                              ;   in Loop: Header=BB0_160 Depth=1
	s_mov_b32 s9, exec_lo
	s_delay_alu instid0(VALU_DEP_2)
	v_cmpx_le_u64_e64 v[16:17], v[14:15]
	s_xor_b32 s9, exec_lo, s9
; %bb.162:                              ;   in Loop: Header=BB0_160 Depth=1
	v_add_co_u32 v16, vcc_lo, v16, v23
	v_add_co_ci_u32_e32 v17, vcc_lo, v17, v22, vcc_lo
; %bb.163:                              ;   in Loop: Header=BB0_160 Depth=1
	s_and_not1_saveexec_b32 s9, s9
; %bb.164:                              ;   in Loop: Header=BB0_160 Depth=1
	s_delay_alu instid0(VALU_DEP_2) | instskip(NEXT) | instid1(VALU_DEP_2)
	v_add_co_u32 v16, vcc_lo, v24, v16
	v_add_co_ci_u32_e32 v17, vcc_lo, v25, v17, vcc_lo
; %bb.165:                              ;   in Loop: Header=BB0_160 Depth=1
	s_or_b32 exec_lo, exec_lo, s9
.LBB0_166:                              ;   in Loop: Header=BB0_160 Depth=1
	s_delay_alu instid0(SALU_CYCLE_1) | instskip(NEXT) | instid1(VALU_DEP_2)
	s_or_b32 exec_lo, exec_lo, s8
	v_add_co_u32 v18, vcc_lo, v16, -1
	s_delay_alu instid0(VALU_DEP_2) | instskip(SKIP_2) | instid1(SALU_CYCLE_1)
	v_add_co_ci_u32_e32 v26, vcc_lo, 0, v17, vcc_lo
	v_cmp_gt_u64_e32 vcc_lo, s[0:1], v[16:17]
	s_add_i32 s8, s2, 2
	v_lshrrev_b64 v[28:29], s8, v[12:13]
	s_mov_b32 s8, exec_lo
	v_cndmask_b32_e32 v17, v26, v17, vcc_lo
	v_cndmask_b32_e32 v16, v18, v16, vcc_lo
	s_delay_alu instid0(VALU_DEP_3) | instskip(NEXT) | instid1(VALU_DEP_2)
	v_and_b32_e32 v28, 1, v28
	v_lshlrev_b64 v[26:27], 1, v[16:17]
	s_delay_alu instid0(VALU_DEP_1) | instskip(NEXT) | instid1(VALU_DEP_2)
	v_add_co_u32 v18, vcc_lo, v26, -1
	v_add_co_ci_u32_e32 v29, vcc_lo, 0, v27, vcc_lo
	v_cmp_gt_i64_e32 vcc_lo, 0, v[16:17]
	s_delay_alu instid0(VALU_DEP_2)
	v_dual_cndmask_b32 v17, v27, v29 :: v_dual_cndmask_b32 v16, v26, v18
	v_cmpx_eq_u32_e32 1, v28
	s_cbranch_execz .LBB0_172
; %bb.167:                              ;   in Loop: Header=BB0_160 Depth=1
	s_mov_b32 s9, exec_lo
	s_delay_alu instid0(VALU_DEP_2)
	v_cmpx_le_u64_e64 v[16:17], v[14:15]
	s_xor_b32 s9, exec_lo, s9
; %bb.168:                              ;   in Loop: Header=BB0_160 Depth=1
	v_add_co_u32 v16, vcc_lo, v16, v23
	v_add_co_ci_u32_e32 v17, vcc_lo, v17, v22, vcc_lo
; %bb.169:                              ;   in Loop: Header=BB0_160 Depth=1
	s_and_not1_saveexec_b32 s9, s9
; %bb.170:                              ;   in Loop: Header=BB0_160 Depth=1
	s_delay_alu instid0(VALU_DEP_2) | instskip(NEXT) | instid1(VALU_DEP_2)
	v_add_co_u32 v16, vcc_lo, v24, v16
	v_add_co_ci_u32_e32 v17, vcc_lo, v25, v17, vcc_lo
; %bb.171:                              ;   in Loop: Header=BB0_160 Depth=1
	s_or_b32 exec_lo, exec_lo, s9
.LBB0_172:                              ;   in Loop: Header=BB0_160 Depth=1
	s_delay_alu instid0(SALU_CYCLE_1) | instskip(NEXT) | instid1(VALU_DEP_2)
	s_or_b32 exec_lo, exec_lo, s8
	v_add_co_u32 v18, vcc_lo, v16, -1
	s_delay_alu instid0(VALU_DEP_2) | instskip(SKIP_2) | instid1(SALU_CYCLE_1)
	v_add_co_ci_u32_e32 v26, vcc_lo, 0, v17, vcc_lo
	v_cmp_gt_u64_e32 vcc_lo, s[0:1], v[16:17]
	s_add_i32 s8, s2, 1
	v_lshrrev_b64 v[28:29], s8, v[12:13]
	s_mov_b32 s8, exec_lo
	v_cndmask_b32_e32 v17, v26, v17, vcc_lo
	v_cndmask_b32_e32 v16, v18, v16, vcc_lo
	s_delay_alu instid0(VALU_DEP_3) | instskip(NEXT) | instid1(VALU_DEP_2)
	v_and_b32_e32 v28, 1, v28
	v_lshlrev_b64 v[26:27], 1, v[16:17]
	s_delay_alu instid0(VALU_DEP_1) | instskip(NEXT) | instid1(VALU_DEP_2)
	v_add_co_u32 v18, vcc_lo, v26, -1
	v_add_co_ci_u32_e32 v29, vcc_lo, 0, v27, vcc_lo
	v_cmp_gt_i64_e32 vcc_lo, 0, v[16:17]
	s_delay_alu instid0(VALU_DEP_2)
	v_dual_cndmask_b32 v17, v27, v29 :: v_dual_cndmask_b32 v16, v26, v18
	v_cmpx_eq_u32_e32 1, v28
	s_cbranch_execz .LBB0_178
; %bb.173:                              ;   in Loop: Header=BB0_160 Depth=1
	s_mov_b32 s9, exec_lo
	s_delay_alu instid0(VALU_DEP_2)
	v_cmpx_le_u64_e64 v[16:17], v[14:15]
	s_xor_b32 s9, exec_lo, s9
; %bb.174:                              ;   in Loop: Header=BB0_160 Depth=1
	v_add_co_u32 v16, vcc_lo, v16, v23
	v_add_co_ci_u32_e32 v17, vcc_lo, v17, v22, vcc_lo
; %bb.175:                              ;   in Loop: Header=BB0_160 Depth=1
	s_and_not1_saveexec_b32 s9, s9
; %bb.176:                              ;   in Loop: Header=BB0_160 Depth=1
	s_delay_alu instid0(VALU_DEP_2) | instskip(NEXT) | instid1(VALU_DEP_2)
	v_add_co_u32 v16, vcc_lo, v24, v16
	v_add_co_ci_u32_e32 v17, vcc_lo, v25, v17, vcc_lo
; %bb.177:                              ;   in Loop: Header=BB0_160 Depth=1
	s_or_b32 exec_lo, exec_lo, s9
.LBB0_178:                              ;   in Loop: Header=BB0_160 Depth=1
	s_delay_alu instid0(SALU_CYCLE_1) | instskip(NEXT) | instid1(VALU_DEP_2)
	s_or_b32 exec_lo, exec_lo, s8
	v_add_co_u32 v18, vcc_lo, v16, -1
	s_delay_alu instid0(VALU_DEP_2) | instskip(SKIP_3) | instid1(VALU_DEP_1)
	v_add_co_ci_u32_e32 v26, vcc_lo, 0, v17, vcc_lo
	v_cmp_gt_u64_e32 vcc_lo, s[0:1], v[16:17]
	v_lshrrev_b64 v[28:29], s2, v[12:13]
	s_mov_b32 s8, exec_lo
	v_dual_cndmask_b32 v17, v26, v17 :: v_dual_and_b32 v28, 1, v28
	v_cndmask_b32_e32 v16, v18, v16, vcc_lo
	s_delay_alu instid0(VALU_DEP_1) | instskip(NEXT) | instid1(VALU_DEP_1)
	v_lshlrev_b64 v[26:27], 1, v[16:17]
	v_add_co_u32 v18, vcc_lo, v26, -1
	s_delay_alu instid0(VALU_DEP_2) | instskip(SKIP_1) | instid1(VALU_DEP_2)
	v_add_co_ci_u32_e32 v29, vcc_lo, 0, v27, vcc_lo
	v_cmp_gt_i64_e32 vcc_lo, 0, v[16:17]
	v_dual_cndmask_b32 v17, v27, v29 :: v_dual_cndmask_b32 v16, v26, v18
	v_cmpx_eq_u32_e32 1, v28
	s_cbranch_execz .LBB0_159
; %bb.179:                              ;   in Loop: Header=BB0_160 Depth=1
	s_mov_b32 s9, exec_lo
	s_delay_alu instid0(VALU_DEP_2)
	v_cmpx_le_u64_e64 v[16:17], v[14:15]
	s_xor_b32 s9, exec_lo, s9
; %bb.180:                              ;   in Loop: Header=BB0_160 Depth=1
	v_add_co_u32 v16, vcc_lo, v16, v23
	v_add_co_ci_u32_e32 v17, vcc_lo, v17, v22, vcc_lo
; %bb.181:                              ;   in Loop: Header=BB0_160 Depth=1
	s_and_not1_saveexec_b32 s9, s9
	s_cbranch_execz .LBB0_158
; %bb.182:                              ;   in Loop: Header=BB0_160 Depth=1
	s_delay_alu instid0(VALU_DEP_2) | instskip(NEXT) | instid1(VALU_DEP_2)
	v_add_co_u32 v16, vcc_lo, v24, v16
	v_add_co_ci_u32_e32 v17, vcc_lo, v25, v17, vcc_lo
	s_branch .LBB0_158
.LBB0_183:
	s_or_b32 exec_lo, exec_lo, s6
	v_sub_co_u32 v12, vcc_lo, v8, v10
	v_sub_co_ci_u32_e32 v13, vcc_lo, v9, v11, vcc_lo
	s_mov_b32 s2, 1
	s_delay_alu instid0(VALU_DEP_2) | instskip(NEXT) | instid1(VALU_DEP_2)
	v_add_co_u32 v14, vcc_lo, v12, 1
	v_add_co_ci_u32_e32 v15, vcc_lo, -1, v13, vcc_lo
	v_cmp_lt_u64_e32 vcc_lo, v[8:9], v[10:11]
	s_mov_b32 s3, -1
	s_mov_b32 s0, 0
	s_mov_b32 s1, s3
	s_mov_b32 s6, exec_lo
	v_dual_cndmask_b32 v9, v13, v15 :: v_dual_cndmask_b32 v8, v12, v14
	v_or_b32_e32 v14, 1, v21
	s_delay_alu instid0(VALU_DEP_2) | instskip(NEXT) | instid1(VALU_DEP_3)
	v_add_co_u32 v10, vcc_lo, v8, -1
	v_add_co_ci_u32_e32 v11, vcc_lo, 0, v9, vcc_lo
	v_cmp_lt_u64_e32 vcc_lo, s[0:1], v[8:9]
	s_delay_alu instid0(VALU_DEP_4) | instskip(NEXT) | instid1(VALU_DEP_3)
	v_or_b32_e32 v12, v19, v14
	v_dual_cndmask_b32 v9, v9, v11 :: v_dual_cndmask_b32 v8, v8, v10
	s_delay_alu instid0(VALU_DEP_2)
	v_lshlrev_b32_e32 v10, 2, v12
	v_mov_b32_e32 v12, 0
	global_store_b32 v10, v17, s[4:5]
	v_cmpx_ne_u64_e32 0, v[8:9]
	s_cbranch_execz .LBB0_210
; %bb.184:
	s_mov_b32 s0, 0x10001
	s_mov_b32 s1, 0xfffeffff
	s_movk_i32 s7, 0xffc0
	v_cmp_lt_u64_e32 vcc_lo, s[0:1], v[8:9]
	v_cmp_gt_u64_e64 s0, s[0:1], v[8:9]
	v_mov_b32_e32 v12, 0
	v_dual_mov_b32 v13, 0 :: v_dual_cndmask_b32 v16, 0x10001, v8
	v_cndmask_b32_e32 v15, 0xfffeffff, v9, vcc_lo
	s_delay_alu instid0(VALU_DEP_4)
	v_cndmask_b32_e64 v9, 0xfffeffff, v9, s0
	v_cndmask_b32_e64 v8, 0x10001, v8, s0
	s_mov_b64 s[0:1], 60
	v_add_co_u32 v17, vcc_lo, v16, -1
	v_not_b32_e32 v11, v15
	v_not_b32_e32 v10, v16
	v_add_co_ci_u32_e32 v18, vcc_lo, 0, v15, vcc_lo
	s_branch .LBB0_187
.LBB0_185:                              ;   in Loop: Header=BB0_187 Depth=1
	s_or_b32 exec_lo, exec_lo, s9
.LBB0_186:                              ;   in Loop: Header=BB0_187 Depth=1
	s_delay_alu instid0(SALU_CYCLE_1) | instskip(NEXT) | instid1(VALU_DEP_2)
	s_or_b32 exec_lo, exec_lo, s8
	v_add_co_u32 v22, vcc_lo, v12, -1
	v_add_co_ci_u32_e32 v23, vcc_lo, 0, v13, vcc_lo
	v_cmp_gt_u64_e32 vcc_lo, s[2:3], v[12:13]
	s_add_i32 s7, s7, 4
	s_add_u32 s0, s0, -4
	s_addc_u32 s1, s1, -1
	s_cmp_lg_u32 s7, 0
	v_dual_cndmask_b32 v13, v23, v13 :: v_dual_cndmask_b32 v12, v22, v12
	s_cbranch_scc0 .LBB0_210
.LBB0_187:                              ; =>This Inner Loop Header: Depth=1
	s_delay_alu instid0(VALU_DEP_1) | instskip(SKIP_1) | instid1(SALU_CYCLE_1)
	v_lshlrev_b64 v[22:23], 1, v[12:13]
	s_add_i32 s8, s0, 3
	v_lshrrev_b64 v[24:25], s8, v[8:9]
	s_mov_b32 s8, exec_lo
	s_delay_alu instid0(VALU_DEP_2) | instskip(NEXT) | instid1(VALU_DEP_3)
	v_add_co_u32 v25, vcc_lo, v22, -1
	v_add_co_ci_u32_e32 v26, vcc_lo, 0, v23, vcc_lo
	v_cmp_gt_i64_e32 vcc_lo, 0, v[12:13]
	s_delay_alu instid0(VALU_DEP_2) | instskip(NEXT) | instid1(VALU_DEP_4)
	v_dual_cndmask_b32 v13, v23, v26 :: v_dual_and_b32 v24, 1, v24
	v_cndmask_b32_e32 v12, v22, v25, vcc_lo
	s_delay_alu instid0(VALU_DEP_2)
	v_cmpx_eq_u32_e32 1, v24
	s_cbranch_execz .LBB0_193
; %bb.188:                              ;   in Loop: Header=BB0_187 Depth=1
	s_mov_b32 s9, exec_lo
	s_delay_alu instid0(VALU_DEP_2)
	v_cmpx_le_u64_e64 v[12:13], v[10:11]
	s_xor_b32 s9, exec_lo, s9
; %bb.189:                              ;   in Loop: Header=BB0_187 Depth=1
	v_add_co_u32 v12, vcc_lo, v12, v16
	v_add_co_ci_u32_e32 v13, vcc_lo, v13, v15, vcc_lo
; %bb.190:                              ;   in Loop: Header=BB0_187 Depth=1
	s_and_not1_saveexec_b32 s9, s9
; %bb.191:                              ;   in Loop: Header=BB0_187 Depth=1
	s_delay_alu instid0(VALU_DEP_2) | instskip(NEXT) | instid1(VALU_DEP_2)
	v_add_co_u32 v12, vcc_lo, v17, v12
	v_add_co_ci_u32_e32 v13, vcc_lo, v18, v13, vcc_lo
; %bb.192:                              ;   in Loop: Header=BB0_187 Depth=1
	s_or_b32 exec_lo, exec_lo, s9
.LBB0_193:                              ;   in Loop: Header=BB0_187 Depth=1
	s_delay_alu instid0(SALU_CYCLE_1) | instskip(NEXT) | instid1(VALU_DEP_2)
	s_or_b32 exec_lo, exec_lo, s8
	v_add_co_u32 v22, vcc_lo, v12, -1
	s_delay_alu instid0(VALU_DEP_2) | instskip(SKIP_2) | instid1(SALU_CYCLE_1)
	v_add_co_ci_u32_e32 v23, vcc_lo, 0, v13, vcc_lo
	v_cmp_gt_u64_e32 vcc_lo, s[2:3], v[12:13]
	s_add_i32 s8, s0, 2
	v_lshrrev_b64 v[24:25], s8, v[8:9]
	s_mov_b32 s8, exec_lo
	v_dual_cndmask_b32 v13, v23, v13 :: v_dual_cndmask_b32 v12, v22, v12
	s_delay_alu instid0(VALU_DEP_1) | instskip(NEXT) | instid1(VALU_DEP_1)
	v_lshlrev_b64 v[22:23], 1, v[12:13]
	v_add_co_u32 v25, vcc_lo, v22, -1
	s_delay_alu instid0(VALU_DEP_2) | instskip(SKIP_1) | instid1(VALU_DEP_2)
	v_add_co_ci_u32_e32 v26, vcc_lo, 0, v23, vcc_lo
	v_cmp_gt_i64_e32 vcc_lo, 0, v[12:13]
	v_dual_cndmask_b32 v13, v23, v26 :: v_dual_and_b32 v24, 1, v24
	s_delay_alu instid0(VALU_DEP_4) | instskip(NEXT) | instid1(VALU_DEP_2)
	v_cndmask_b32_e32 v12, v22, v25, vcc_lo
	v_cmpx_eq_u32_e32 1, v24
	s_cbranch_execz .LBB0_199
; %bb.194:                              ;   in Loop: Header=BB0_187 Depth=1
	s_mov_b32 s9, exec_lo
	s_delay_alu instid0(VALU_DEP_2)
	v_cmpx_le_u64_e64 v[12:13], v[10:11]
	s_xor_b32 s9, exec_lo, s9
; %bb.195:                              ;   in Loop: Header=BB0_187 Depth=1
	v_add_co_u32 v12, vcc_lo, v12, v16
	v_add_co_ci_u32_e32 v13, vcc_lo, v13, v15, vcc_lo
; %bb.196:                              ;   in Loop: Header=BB0_187 Depth=1
	s_and_not1_saveexec_b32 s9, s9
; %bb.197:                              ;   in Loop: Header=BB0_187 Depth=1
	s_delay_alu instid0(VALU_DEP_2) | instskip(NEXT) | instid1(VALU_DEP_2)
	v_add_co_u32 v12, vcc_lo, v17, v12
	v_add_co_ci_u32_e32 v13, vcc_lo, v18, v13, vcc_lo
; %bb.198:                              ;   in Loop: Header=BB0_187 Depth=1
	s_or_b32 exec_lo, exec_lo, s9
.LBB0_199:                              ;   in Loop: Header=BB0_187 Depth=1
	s_delay_alu instid0(SALU_CYCLE_1) | instskip(NEXT) | instid1(VALU_DEP_2)
	s_or_b32 exec_lo, exec_lo, s8
	v_add_co_u32 v22, vcc_lo, v12, -1
	s_delay_alu instid0(VALU_DEP_2) | instskip(SKIP_2) | instid1(SALU_CYCLE_1)
	v_add_co_ci_u32_e32 v23, vcc_lo, 0, v13, vcc_lo
	v_cmp_gt_u64_e32 vcc_lo, s[2:3], v[12:13]
	s_add_i32 s8, s0, 1
	v_lshrrev_b64 v[24:25], s8, v[8:9]
	s_mov_b32 s8, exec_lo
	v_dual_cndmask_b32 v13, v23, v13 :: v_dual_cndmask_b32 v12, v22, v12
	s_delay_alu instid0(VALU_DEP_1) | instskip(NEXT) | instid1(VALU_DEP_1)
	v_lshlrev_b64 v[22:23], 1, v[12:13]
	v_add_co_u32 v25, vcc_lo, v22, -1
	s_delay_alu instid0(VALU_DEP_2) | instskip(SKIP_1) | instid1(VALU_DEP_2)
	v_add_co_ci_u32_e32 v26, vcc_lo, 0, v23, vcc_lo
	v_cmp_gt_i64_e32 vcc_lo, 0, v[12:13]
	v_dual_cndmask_b32 v13, v23, v26 :: v_dual_and_b32 v24, 1, v24
	s_delay_alu instid0(VALU_DEP_4) | instskip(NEXT) | instid1(VALU_DEP_2)
	v_cndmask_b32_e32 v12, v22, v25, vcc_lo
	v_cmpx_eq_u32_e32 1, v24
	s_cbranch_execz .LBB0_205
; %bb.200:                              ;   in Loop: Header=BB0_187 Depth=1
	s_mov_b32 s9, exec_lo
	s_delay_alu instid0(VALU_DEP_2)
	v_cmpx_le_u64_e64 v[12:13], v[10:11]
	s_xor_b32 s9, exec_lo, s9
; %bb.201:                              ;   in Loop: Header=BB0_187 Depth=1
	v_add_co_u32 v12, vcc_lo, v12, v16
	v_add_co_ci_u32_e32 v13, vcc_lo, v13, v15, vcc_lo
; %bb.202:                              ;   in Loop: Header=BB0_187 Depth=1
	s_and_not1_saveexec_b32 s9, s9
; %bb.203:                              ;   in Loop: Header=BB0_187 Depth=1
	s_delay_alu instid0(VALU_DEP_2) | instskip(NEXT) | instid1(VALU_DEP_2)
	v_add_co_u32 v12, vcc_lo, v17, v12
	v_add_co_ci_u32_e32 v13, vcc_lo, v18, v13, vcc_lo
; %bb.204:                              ;   in Loop: Header=BB0_187 Depth=1
	s_or_b32 exec_lo, exec_lo, s9
.LBB0_205:                              ;   in Loop: Header=BB0_187 Depth=1
	s_delay_alu instid0(SALU_CYCLE_1) | instskip(NEXT) | instid1(VALU_DEP_2)
	s_or_b32 exec_lo, exec_lo, s8
	v_add_co_u32 v22, vcc_lo, v12, -1
	s_delay_alu instid0(VALU_DEP_2) | instskip(SKIP_3) | instid1(VALU_DEP_3)
	v_add_co_ci_u32_e32 v23, vcc_lo, 0, v13, vcc_lo
	v_cmp_gt_u64_e32 vcc_lo, s[2:3], v[12:13]
	v_lshrrev_b64 v[24:25], s0, v[8:9]
	s_mov_b32 s8, exec_lo
	v_dual_cndmask_b32 v13, v23, v13 :: v_dual_cndmask_b32 v12, v22, v12
	s_delay_alu instid0(VALU_DEP_1) | instskip(NEXT) | instid1(VALU_DEP_1)
	v_lshlrev_b64 v[22:23], 1, v[12:13]
	v_add_co_u32 v25, vcc_lo, v22, -1
	s_delay_alu instid0(VALU_DEP_2) | instskip(SKIP_1) | instid1(VALU_DEP_2)
	v_add_co_ci_u32_e32 v26, vcc_lo, 0, v23, vcc_lo
	v_cmp_gt_i64_e32 vcc_lo, 0, v[12:13]
	v_dual_cndmask_b32 v13, v23, v26 :: v_dual_and_b32 v24, 1, v24
	s_delay_alu instid0(VALU_DEP_4) | instskip(NEXT) | instid1(VALU_DEP_2)
	v_cndmask_b32_e32 v12, v22, v25, vcc_lo
	v_cmpx_eq_u32_e32 1, v24
	s_cbranch_execz .LBB0_186
; %bb.206:                              ;   in Loop: Header=BB0_187 Depth=1
	s_mov_b32 s9, exec_lo
	s_delay_alu instid0(VALU_DEP_2)
	v_cmpx_le_u64_e64 v[12:13], v[10:11]
	s_xor_b32 s9, exec_lo, s9
; %bb.207:                              ;   in Loop: Header=BB0_187 Depth=1
	v_add_co_u32 v12, vcc_lo, v12, v16
	v_add_co_ci_u32_e32 v13, vcc_lo, v13, v15, vcc_lo
; %bb.208:                              ;   in Loop: Header=BB0_187 Depth=1
	s_and_not1_saveexec_b32 s9, s9
	s_cbranch_execz .LBB0_185
; %bb.209:                              ;   in Loop: Header=BB0_187 Depth=1
	s_delay_alu instid0(VALU_DEP_2) | instskip(NEXT) | instid1(VALU_DEP_2)
	v_add_co_u32 v12, vcc_lo, v17, v12
	v_add_co_ci_u32_e32 v13, vcc_lo, v18, v13, vcc_lo
	s_branch .LBB0_185
.LBB0_210:
	s_or_b32 exec_lo, exec_lo, s6
	s_waitcnt lgkmcnt(1)
	v_add_co_u32 v8, vcc_lo, v6, v4
	v_add_co_ci_u32_e32 v9, vcc_lo, v7, v5, vcc_lo
	s_mov_b32 s1, -1
	s_delay_alu instid0(VALU_DEP_2) | instskip(NEXT) | instid1(VALU_DEP_2)
	v_add_co_u32 v10, vcc_lo, v8, -1
	v_add_co_ci_u32_e32 v11, vcc_lo, 0, v9, vcc_lo
	v_cmp_lt_u64_e32 vcc_lo, v[8:9], v[6:7]
	s_mov_b32 s0, 0
	v_lshlrev_b32_e32 v13, 2, v14
	s_mov_b32 s6, exec_lo
	v_dual_cndmask_b32 v9, v9, v11 :: v_dual_cndmask_b32 v8, v8, v10
	s_delay_alu instid0(VALU_DEP_1) | instskip(NEXT) | instid1(VALU_DEP_2)
	v_add_co_u32 v10, vcc_lo, v8, -1
	v_add_co_ci_u32_e32 v11, vcc_lo, 0, v9, vcc_lo
	v_cmp_lt_u64_e32 vcc_lo, s[0:1], v[8:9]
	s_delay_alu instid0(VALU_DEP_2) | instskip(NEXT) | instid1(VALU_DEP_1)
	v_dual_cndmask_b32 v9, v9, v11 :: v_dual_cndmask_b32 v8, v8, v10
	v_add_co_u32 v10, vcc_lo, v8, -1
	s_delay_alu instid0(VALU_DEP_2) | instskip(SKIP_1) | instid1(VALU_DEP_2)
	v_add_co_ci_u32_e32 v11, vcc_lo, 0, v9, vcc_lo
	v_cmp_lt_u64_e32 vcc_lo, s[0:1], v[8:9]
	v_dual_cndmask_b32 v9, v9, v11 :: v_dual_cndmask_b32 v8, v8, v10
	v_or3_b32 v10, v20, v13, 0x20000
	v_mov_b32_e32 v13, 0
	global_store_b32 v10, v12, s[4:5]
	v_cmpx_ne_u64_e32 0, v[8:9]
	s_cbranch_execz .LBB0_237
; %bb.211:
	s_mov_b32 s2, 0x10001
	s_mov_b32 s3, 0xfffeffff
	s_movk_i32 s7, 0xffc0
	v_cmp_lt_u64_e32 vcc_lo, s[2:3], v[8:9]
	v_cmp_gt_u64_e64 s0, s[2:3], v[8:9]
	s_mov_b64 s[2:3], 60
	v_mov_b32_e32 v13, 0
	v_mov_b32_e32 v14, 0
	v_cndmask_b32_e32 v16, 0x10001, v8, vcc_lo
	v_cndmask_b32_e32 v15, 0xfffeffff, v9, vcc_lo
	v_cndmask_b32_e64 v9, 0xfffeffff, v9, s0
	v_cndmask_b32_e64 v8, 0x10001, v8, s0
	s_mov_b32 s0, 1
	v_add_co_u32 v17, vcc_lo, v16, -1
	v_not_b32_e32 v11, v15
	v_not_b32_e32 v10, v16
	v_add_co_ci_u32_e32 v18, vcc_lo, 0, v15, vcc_lo
	s_branch .LBB0_214
.LBB0_212:                              ;   in Loop: Header=BB0_214 Depth=1
	s_or_b32 exec_lo, exec_lo, s9
.LBB0_213:                              ;   in Loop: Header=BB0_214 Depth=1
	s_delay_alu instid0(SALU_CYCLE_1) | instskip(NEXT) | instid1(VALU_DEP_2)
	s_or_b32 exec_lo, exec_lo, s8
	v_add_co_u32 v22, vcc_lo, v12, -1
	v_add_co_ci_u32_e32 v14, vcc_lo, 0, v13, vcc_lo
	v_cmp_gt_u64_e32 vcc_lo, s[0:1], v[12:13]
	s_add_i32 s7, s7, 4
	s_add_u32 s2, s2, -4
	s_addc_u32 s3, s3, -1
	s_cmp_lg_u32 s7, 0
	v_cndmask_b32_e32 v14, v14, v13, vcc_lo
	v_cndmask_b32_e32 v13, v22, v12, vcc_lo
	s_cbranch_scc0 .LBB0_237
.LBB0_214:                              ; =>This Inner Loop Header: Depth=1
	s_delay_alu instid0(VALU_DEP_1) | instskip(SKIP_1) | instid1(SALU_CYCLE_1)
	v_lshlrev_b64 v[22:23], 1, v[13:14]
	s_add_i32 s8, s2, 3
	v_lshrrev_b64 v[24:25], s8, v[8:9]
	s_mov_b32 s8, exec_lo
	s_delay_alu instid0(VALU_DEP_2) | instskip(NEXT) | instid1(VALU_DEP_3)
	v_add_co_u32 v12, vcc_lo, v22, -1
	v_add_co_ci_u32_e32 v25, vcc_lo, 0, v23, vcc_lo
	v_cmp_gt_i64_e32 vcc_lo, 0, v[13:14]
	s_delay_alu instid0(VALU_DEP_2) | instskip(NEXT) | instid1(VALU_DEP_4)
	v_dual_cndmask_b32 v13, v23, v25 :: v_dual_and_b32 v14, 1, v24
	v_cndmask_b32_e32 v12, v22, v12, vcc_lo
	s_delay_alu instid0(VALU_DEP_2)
	v_cmpx_eq_u32_e32 1, v14
	s_cbranch_execz .LBB0_220
; %bb.215:                              ;   in Loop: Header=BB0_214 Depth=1
	s_mov_b32 s9, exec_lo
	s_delay_alu instid0(VALU_DEP_2)
	v_cmpx_le_u64_e64 v[12:13], v[10:11]
	s_xor_b32 s9, exec_lo, s9
; %bb.216:                              ;   in Loop: Header=BB0_214 Depth=1
	v_add_co_u32 v12, vcc_lo, v12, v16
	v_add_co_ci_u32_e32 v13, vcc_lo, v13, v15, vcc_lo
; %bb.217:                              ;   in Loop: Header=BB0_214 Depth=1
	s_and_not1_saveexec_b32 s9, s9
; %bb.218:                              ;   in Loop: Header=BB0_214 Depth=1
	s_delay_alu instid0(VALU_DEP_2) | instskip(NEXT) | instid1(VALU_DEP_2)
	v_add_co_u32 v12, vcc_lo, v17, v12
	v_add_co_ci_u32_e32 v13, vcc_lo, v18, v13, vcc_lo
; %bb.219:                              ;   in Loop: Header=BB0_214 Depth=1
	s_or_b32 exec_lo, exec_lo, s9
.LBB0_220:                              ;   in Loop: Header=BB0_214 Depth=1
	s_delay_alu instid0(SALU_CYCLE_1) | instskip(NEXT) | instid1(VALU_DEP_2)
	s_or_b32 exec_lo, exec_lo, s8
	v_add_co_u32 v14, vcc_lo, v12, -1
	s_delay_alu instid0(VALU_DEP_2) | instskip(SKIP_2) | instid1(SALU_CYCLE_1)
	v_add_co_ci_u32_e32 v22, vcc_lo, 0, v13, vcc_lo
	v_cmp_gt_u64_e32 vcc_lo, s[0:1], v[12:13]
	s_add_i32 s8, s2, 2
	v_lshrrev_b64 v[24:25], s8, v[8:9]
	s_mov_b32 s8, exec_lo
	v_cndmask_b32_e32 v13, v22, v13, vcc_lo
	v_cndmask_b32_e32 v12, v14, v12, vcc_lo
	s_delay_alu instid0(VALU_DEP_3) | instskip(NEXT) | instid1(VALU_DEP_2)
	v_and_b32_e32 v24, 1, v24
	v_lshlrev_b64 v[22:23], 1, v[12:13]
	s_delay_alu instid0(VALU_DEP_1) | instskip(NEXT) | instid1(VALU_DEP_2)
	v_add_co_u32 v14, vcc_lo, v22, -1
	v_add_co_ci_u32_e32 v25, vcc_lo, 0, v23, vcc_lo
	v_cmp_gt_i64_e32 vcc_lo, 0, v[12:13]
	s_delay_alu instid0(VALU_DEP_2)
	v_dual_cndmask_b32 v13, v23, v25 :: v_dual_cndmask_b32 v12, v22, v14
	v_cmpx_eq_u32_e32 1, v24
	s_cbranch_execz .LBB0_226
; %bb.221:                              ;   in Loop: Header=BB0_214 Depth=1
	s_mov_b32 s9, exec_lo
	s_delay_alu instid0(VALU_DEP_2)
	v_cmpx_le_u64_e64 v[12:13], v[10:11]
	s_xor_b32 s9, exec_lo, s9
; %bb.222:                              ;   in Loop: Header=BB0_214 Depth=1
	v_add_co_u32 v12, vcc_lo, v12, v16
	v_add_co_ci_u32_e32 v13, vcc_lo, v13, v15, vcc_lo
; %bb.223:                              ;   in Loop: Header=BB0_214 Depth=1
	s_and_not1_saveexec_b32 s9, s9
; %bb.224:                              ;   in Loop: Header=BB0_214 Depth=1
	s_delay_alu instid0(VALU_DEP_2) | instskip(NEXT) | instid1(VALU_DEP_2)
	v_add_co_u32 v12, vcc_lo, v17, v12
	v_add_co_ci_u32_e32 v13, vcc_lo, v18, v13, vcc_lo
; %bb.225:                              ;   in Loop: Header=BB0_214 Depth=1
	s_or_b32 exec_lo, exec_lo, s9
.LBB0_226:                              ;   in Loop: Header=BB0_214 Depth=1
	s_delay_alu instid0(SALU_CYCLE_1) | instskip(NEXT) | instid1(VALU_DEP_2)
	s_or_b32 exec_lo, exec_lo, s8
	v_add_co_u32 v14, vcc_lo, v12, -1
	s_delay_alu instid0(VALU_DEP_2) | instskip(SKIP_2) | instid1(SALU_CYCLE_1)
	v_add_co_ci_u32_e32 v22, vcc_lo, 0, v13, vcc_lo
	v_cmp_gt_u64_e32 vcc_lo, s[0:1], v[12:13]
	s_add_i32 s8, s2, 1
	v_lshrrev_b64 v[24:25], s8, v[8:9]
	s_mov_b32 s8, exec_lo
	v_cndmask_b32_e32 v13, v22, v13, vcc_lo
	v_cndmask_b32_e32 v12, v14, v12, vcc_lo
	s_delay_alu instid0(VALU_DEP_3) | instskip(NEXT) | instid1(VALU_DEP_2)
	v_and_b32_e32 v24, 1, v24
	v_lshlrev_b64 v[22:23], 1, v[12:13]
	s_delay_alu instid0(VALU_DEP_1) | instskip(NEXT) | instid1(VALU_DEP_2)
	v_add_co_u32 v14, vcc_lo, v22, -1
	v_add_co_ci_u32_e32 v25, vcc_lo, 0, v23, vcc_lo
	v_cmp_gt_i64_e32 vcc_lo, 0, v[12:13]
	s_delay_alu instid0(VALU_DEP_2)
	v_dual_cndmask_b32 v13, v23, v25 :: v_dual_cndmask_b32 v12, v22, v14
	v_cmpx_eq_u32_e32 1, v24
	s_cbranch_execz .LBB0_232
; %bb.227:                              ;   in Loop: Header=BB0_214 Depth=1
	s_mov_b32 s9, exec_lo
	s_delay_alu instid0(VALU_DEP_2)
	v_cmpx_le_u64_e64 v[12:13], v[10:11]
	s_xor_b32 s9, exec_lo, s9
; %bb.228:                              ;   in Loop: Header=BB0_214 Depth=1
	v_add_co_u32 v12, vcc_lo, v12, v16
	v_add_co_ci_u32_e32 v13, vcc_lo, v13, v15, vcc_lo
; %bb.229:                              ;   in Loop: Header=BB0_214 Depth=1
	s_and_not1_saveexec_b32 s9, s9
; %bb.230:                              ;   in Loop: Header=BB0_214 Depth=1
	s_delay_alu instid0(VALU_DEP_2) | instskip(NEXT) | instid1(VALU_DEP_2)
	v_add_co_u32 v12, vcc_lo, v17, v12
	v_add_co_ci_u32_e32 v13, vcc_lo, v18, v13, vcc_lo
; %bb.231:                              ;   in Loop: Header=BB0_214 Depth=1
	s_or_b32 exec_lo, exec_lo, s9
.LBB0_232:                              ;   in Loop: Header=BB0_214 Depth=1
	s_delay_alu instid0(SALU_CYCLE_1) | instskip(NEXT) | instid1(VALU_DEP_2)
	s_or_b32 exec_lo, exec_lo, s8
	v_add_co_u32 v14, vcc_lo, v12, -1
	s_delay_alu instid0(VALU_DEP_2) | instskip(SKIP_3) | instid1(VALU_DEP_1)
	v_add_co_ci_u32_e32 v22, vcc_lo, 0, v13, vcc_lo
	v_cmp_gt_u64_e32 vcc_lo, s[0:1], v[12:13]
	v_lshrrev_b64 v[24:25], s2, v[8:9]
	s_mov_b32 s8, exec_lo
	v_dual_cndmask_b32 v13, v22, v13 :: v_dual_and_b32 v24, 1, v24
	v_cndmask_b32_e32 v12, v14, v12, vcc_lo
	s_delay_alu instid0(VALU_DEP_1) | instskip(NEXT) | instid1(VALU_DEP_1)
	v_lshlrev_b64 v[22:23], 1, v[12:13]
	v_add_co_u32 v14, vcc_lo, v22, -1
	s_delay_alu instid0(VALU_DEP_2) | instskip(SKIP_1) | instid1(VALU_DEP_2)
	v_add_co_ci_u32_e32 v25, vcc_lo, 0, v23, vcc_lo
	v_cmp_gt_i64_e32 vcc_lo, 0, v[12:13]
	v_dual_cndmask_b32 v13, v23, v25 :: v_dual_cndmask_b32 v12, v22, v14
	v_cmpx_eq_u32_e32 1, v24
	s_cbranch_execz .LBB0_213
; %bb.233:                              ;   in Loop: Header=BB0_214 Depth=1
	s_mov_b32 s9, exec_lo
	s_delay_alu instid0(VALU_DEP_2)
	v_cmpx_le_u64_e64 v[12:13], v[10:11]
	s_xor_b32 s9, exec_lo, s9
; %bb.234:                              ;   in Loop: Header=BB0_214 Depth=1
	v_add_co_u32 v12, vcc_lo, v12, v16
	v_add_co_ci_u32_e32 v13, vcc_lo, v13, v15, vcc_lo
; %bb.235:                              ;   in Loop: Header=BB0_214 Depth=1
	s_and_not1_saveexec_b32 s9, s9
	s_cbranch_execz .LBB0_212
; %bb.236:                              ;   in Loop: Header=BB0_214 Depth=1
	s_delay_alu instid0(VALU_DEP_2) | instskip(NEXT) | instid1(VALU_DEP_2)
	v_add_co_u32 v12, vcc_lo, v17, v12
	v_add_co_ci_u32_e32 v13, vcc_lo, v18, v13, vcc_lo
	s_branch .LBB0_212
.LBB0_237:
	s_or_b32 exec_lo, exec_lo, s6
	v_sub_co_u32 v8, vcc_lo, v4, v6
	v_sub_co_ci_u32_e32 v9, vcc_lo, v5, v7, vcc_lo
	s_mov_b32 s2, 1
	s_delay_alu instid0(VALU_DEP_2) | instskip(NEXT) | instid1(VALU_DEP_2)
	v_add_co_u32 v10, vcc_lo, v8, 1
	v_add_co_ci_u32_e32 v11, vcc_lo, -1, v9, vcc_lo
	v_cmp_lt_u64_e32 vcc_lo, v[4:5], v[6:7]
	s_mov_b32 s3, -1
	s_mov_b32 s0, 0
	s_mov_b32 s1, s3
	s_mov_b32 s6, exec_lo
	v_dual_cndmask_b32 v5, v9, v11 :: v_dual_cndmask_b32 v4, v8, v10
	v_or_b32_e32 v10, 2, v21
	s_delay_alu instid0(VALU_DEP_2) | instskip(NEXT) | instid1(VALU_DEP_3)
	v_add_co_u32 v6, vcc_lo, v4, -1
	v_add_co_ci_u32_e32 v7, vcc_lo, 0, v5, vcc_lo
	v_cmp_lt_u64_e32 vcc_lo, s[0:1], v[4:5]
	s_delay_alu instid0(VALU_DEP_4) | instskip(NEXT) | instid1(VALU_DEP_3)
	v_or_b32_e32 v8, v19, v10
	v_dual_cndmask_b32 v5, v5, v7 :: v_dual_cndmask_b32 v4, v4, v6
	s_delay_alu instid0(VALU_DEP_2)
	v_lshlrev_b32_e32 v6, 2, v8
	v_mov_b32_e32 v8, 0
	global_store_b32 v6, v13, s[4:5]
	v_cmpx_ne_u64_e32 0, v[4:5]
	s_cbranch_execz .LBB0_264
; %bb.238:
	s_mov_b32 s0, 0x10001
	s_mov_b32 s1, 0xfffeffff
	s_movk_i32 s7, 0xffc0
	v_cmp_lt_u64_e32 vcc_lo, s[0:1], v[4:5]
	v_cmp_gt_u64_e64 s0, s[0:1], v[4:5]
	v_mov_b32_e32 v8, 0
	v_dual_mov_b32 v9, 0 :: v_dual_cndmask_b32 v12, 0x10001, v4
	v_cndmask_b32_e32 v11, 0xfffeffff, v5, vcc_lo
	s_delay_alu instid0(VALU_DEP_4)
	v_cndmask_b32_e64 v5, 0xfffeffff, v5, s0
	v_cndmask_b32_e64 v4, 0x10001, v4, s0
	s_mov_b64 s[0:1], 60
	v_add_co_u32 v13, vcc_lo, v12, -1
	v_not_b32_e32 v7, v11
	v_not_b32_e32 v6, v12
	v_add_co_ci_u32_e32 v14, vcc_lo, 0, v11, vcc_lo
	s_branch .LBB0_241
.LBB0_239:                              ;   in Loop: Header=BB0_241 Depth=1
	s_or_b32 exec_lo, exec_lo, s9
.LBB0_240:                              ;   in Loop: Header=BB0_241 Depth=1
	s_delay_alu instid0(SALU_CYCLE_1)
	s_or_b32 exec_lo, exec_lo, s8
	v_add_co_u32 v15, vcc_lo, v8, -1
	v_add_co_ci_u32_e32 v16, vcc_lo, 0, v9, vcc_lo
	v_cmp_gt_u64_e32 vcc_lo, s[2:3], v[8:9]
	s_add_i32 s7, s7, 4
	s_add_u32 s0, s0, -4
	s_addc_u32 s1, s1, -1
	s_cmp_lg_u32 s7, 0
	v_dual_cndmask_b32 v9, v16, v9 :: v_dual_cndmask_b32 v8, v15, v8
	s_cbranch_scc0 .LBB0_264
.LBB0_241:                              ; =>This Inner Loop Header: Depth=1
	s_delay_alu instid0(VALU_DEP_1) | instskip(SKIP_1) | instid1(SALU_CYCLE_1)
	v_lshlrev_b64 v[15:16], 1, v[8:9]
	s_add_i32 s8, s0, 3
	v_lshrrev_b64 v[17:18], s8, v[4:5]
	s_mov_b32 s8, exec_lo
	s_delay_alu instid0(VALU_DEP_2) | instskip(NEXT) | instid1(VALU_DEP_3)
	v_add_co_u32 v18, vcc_lo, v15, -1
	v_add_co_ci_u32_e32 v22, vcc_lo, 0, v16, vcc_lo
	v_cmp_gt_i64_e32 vcc_lo, 0, v[8:9]
	s_delay_alu instid0(VALU_DEP_3) | instskip(NEXT) | instid1(VALU_DEP_3)
	v_dual_cndmask_b32 v8, v15, v18 :: v_dual_and_b32 v17, 1, v17
	v_cndmask_b32_e32 v9, v16, v22, vcc_lo
	s_delay_alu instid0(VALU_DEP_2)
	v_cmpx_eq_u32_e32 1, v17
	s_cbranch_execz .LBB0_247
; %bb.242:                              ;   in Loop: Header=BB0_241 Depth=1
	s_mov_b32 s9, exec_lo
	s_delay_alu instid0(VALU_DEP_2)
	v_cmpx_le_u64_e64 v[8:9], v[6:7]
	s_xor_b32 s9, exec_lo, s9
; %bb.243:                              ;   in Loop: Header=BB0_241 Depth=1
	v_add_co_u32 v8, vcc_lo, v8, v12
	v_add_co_ci_u32_e32 v9, vcc_lo, v9, v11, vcc_lo
; %bb.244:                              ;   in Loop: Header=BB0_241 Depth=1
	s_and_not1_saveexec_b32 s9, s9
; %bb.245:                              ;   in Loop: Header=BB0_241 Depth=1
	s_delay_alu instid0(VALU_DEP_2) | instskip(NEXT) | instid1(VALU_DEP_2)
	v_add_co_u32 v8, vcc_lo, v13, v8
	v_add_co_ci_u32_e32 v9, vcc_lo, v14, v9, vcc_lo
; %bb.246:                              ;   in Loop: Header=BB0_241 Depth=1
	s_or_b32 exec_lo, exec_lo, s9
.LBB0_247:                              ;   in Loop: Header=BB0_241 Depth=1
	s_delay_alu instid0(SALU_CYCLE_1) | instskip(NEXT) | instid1(VALU_DEP_2)
	s_or_b32 exec_lo, exec_lo, s8
	v_add_co_u32 v15, vcc_lo, v8, -1
	s_delay_alu instid0(VALU_DEP_2) | instskip(SKIP_2) | instid1(SALU_CYCLE_1)
	v_add_co_ci_u32_e32 v16, vcc_lo, 0, v9, vcc_lo
	v_cmp_gt_u64_e32 vcc_lo, s[2:3], v[8:9]
	s_add_i32 s8, s0, 2
	v_lshrrev_b64 v[17:18], s8, v[4:5]
	s_mov_b32 s8, exec_lo
	v_dual_cndmask_b32 v9, v16, v9 :: v_dual_cndmask_b32 v8, v15, v8
	s_delay_alu instid0(VALU_DEP_1) | instskip(NEXT) | instid1(VALU_DEP_1)
	v_lshlrev_b64 v[15:16], 1, v[8:9]
	v_add_co_u32 v18, vcc_lo, v15, -1
	s_delay_alu instid0(VALU_DEP_2) | instskip(SKIP_1) | instid1(VALU_DEP_3)
	v_add_co_ci_u32_e32 v22, vcc_lo, 0, v16, vcc_lo
	v_cmp_gt_i64_e32 vcc_lo, 0, v[8:9]
	v_dual_cndmask_b32 v8, v15, v18 :: v_dual_and_b32 v17, 1, v17
	s_delay_alu instid0(VALU_DEP_3) | instskip(NEXT) | instid1(VALU_DEP_2)
	v_cndmask_b32_e32 v9, v16, v22, vcc_lo
	v_cmpx_eq_u32_e32 1, v17
	s_cbranch_execz .LBB0_253
; %bb.248:                              ;   in Loop: Header=BB0_241 Depth=1
	s_mov_b32 s9, exec_lo
	s_delay_alu instid0(VALU_DEP_2)
	v_cmpx_le_u64_e64 v[8:9], v[6:7]
	s_xor_b32 s9, exec_lo, s9
; %bb.249:                              ;   in Loop: Header=BB0_241 Depth=1
	v_add_co_u32 v8, vcc_lo, v8, v12
	v_add_co_ci_u32_e32 v9, vcc_lo, v9, v11, vcc_lo
; %bb.250:                              ;   in Loop: Header=BB0_241 Depth=1
	s_and_not1_saveexec_b32 s9, s9
; %bb.251:                              ;   in Loop: Header=BB0_241 Depth=1
	s_delay_alu instid0(VALU_DEP_2) | instskip(NEXT) | instid1(VALU_DEP_2)
	v_add_co_u32 v8, vcc_lo, v13, v8
	v_add_co_ci_u32_e32 v9, vcc_lo, v14, v9, vcc_lo
; %bb.252:                              ;   in Loop: Header=BB0_241 Depth=1
	s_or_b32 exec_lo, exec_lo, s9
.LBB0_253:                              ;   in Loop: Header=BB0_241 Depth=1
	s_delay_alu instid0(SALU_CYCLE_1) | instskip(NEXT) | instid1(VALU_DEP_2)
	s_or_b32 exec_lo, exec_lo, s8
	v_add_co_u32 v15, vcc_lo, v8, -1
	s_delay_alu instid0(VALU_DEP_2) | instskip(SKIP_2) | instid1(SALU_CYCLE_1)
	v_add_co_ci_u32_e32 v16, vcc_lo, 0, v9, vcc_lo
	v_cmp_gt_u64_e32 vcc_lo, s[2:3], v[8:9]
	s_add_i32 s8, s0, 1
	v_lshrrev_b64 v[17:18], s8, v[4:5]
	s_mov_b32 s8, exec_lo
	v_dual_cndmask_b32 v9, v16, v9 :: v_dual_cndmask_b32 v8, v15, v8
	s_delay_alu instid0(VALU_DEP_1) | instskip(NEXT) | instid1(VALU_DEP_1)
	v_lshlrev_b64 v[15:16], 1, v[8:9]
	v_add_co_u32 v18, vcc_lo, v15, -1
	s_delay_alu instid0(VALU_DEP_2) | instskip(SKIP_1) | instid1(VALU_DEP_3)
	v_add_co_ci_u32_e32 v22, vcc_lo, 0, v16, vcc_lo
	v_cmp_gt_i64_e32 vcc_lo, 0, v[8:9]
	v_dual_cndmask_b32 v8, v15, v18 :: v_dual_and_b32 v17, 1, v17
	s_delay_alu instid0(VALU_DEP_3) | instskip(NEXT) | instid1(VALU_DEP_2)
	v_cndmask_b32_e32 v9, v16, v22, vcc_lo
	v_cmpx_eq_u32_e32 1, v17
	s_cbranch_execz .LBB0_259
; %bb.254:                              ;   in Loop: Header=BB0_241 Depth=1
	s_mov_b32 s9, exec_lo
	s_delay_alu instid0(VALU_DEP_2)
	v_cmpx_le_u64_e64 v[8:9], v[6:7]
	s_xor_b32 s9, exec_lo, s9
; %bb.255:                              ;   in Loop: Header=BB0_241 Depth=1
	v_add_co_u32 v8, vcc_lo, v8, v12
	v_add_co_ci_u32_e32 v9, vcc_lo, v9, v11, vcc_lo
; %bb.256:                              ;   in Loop: Header=BB0_241 Depth=1
	s_and_not1_saveexec_b32 s9, s9
; %bb.257:                              ;   in Loop: Header=BB0_241 Depth=1
	s_delay_alu instid0(VALU_DEP_2) | instskip(NEXT) | instid1(VALU_DEP_2)
	v_add_co_u32 v8, vcc_lo, v13, v8
	v_add_co_ci_u32_e32 v9, vcc_lo, v14, v9, vcc_lo
; %bb.258:                              ;   in Loop: Header=BB0_241 Depth=1
	s_or_b32 exec_lo, exec_lo, s9
.LBB0_259:                              ;   in Loop: Header=BB0_241 Depth=1
	s_delay_alu instid0(SALU_CYCLE_1) | instskip(NEXT) | instid1(VALU_DEP_2)
	s_or_b32 exec_lo, exec_lo, s8
	v_add_co_u32 v15, vcc_lo, v8, -1
	s_delay_alu instid0(VALU_DEP_2) | instskip(SKIP_3) | instid1(VALU_DEP_3)
	v_add_co_ci_u32_e32 v16, vcc_lo, 0, v9, vcc_lo
	v_cmp_gt_u64_e32 vcc_lo, s[2:3], v[8:9]
	v_lshrrev_b64 v[17:18], s0, v[4:5]
	s_mov_b32 s8, exec_lo
	v_dual_cndmask_b32 v9, v16, v9 :: v_dual_cndmask_b32 v8, v15, v8
	s_delay_alu instid0(VALU_DEP_1) | instskip(NEXT) | instid1(VALU_DEP_1)
	v_lshlrev_b64 v[15:16], 1, v[8:9]
	v_add_co_u32 v18, vcc_lo, v15, -1
	s_delay_alu instid0(VALU_DEP_2) | instskip(SKIP_1) | instid1(VALU_DEP_3)
	v_add_co_ci_u32_e32 v22, vcc_lo, 0, v16, vcc_lo
	v_cmp_gt_i64_e32 vcc_lo, 0, v[8:9]
	v_dual_cndmask_b32 v8, v15, v18 :: v_dual_and_b32 v17, 1, v17
	s_delay_alu instid0(VALU_DEP_3) | instskip(NEXT) | instid1(VALU_DEP_2)
	v_cndmask_b32_e32 v9, v16, v22, vcc_lo
	v_cmpx_eq_u32_e32 1, v17
	s_cbranch_execz .LBB0_240
; %bb.260:                              ;   in Loop: Header=BB0_241 Depth=1
	s_mov_b32 s9, exec_lo
	s_delay_alu instid0(VALU_DEP_2)
	v_cmpx_le_u64_e64 v[8:9], v[6:7]
	s_xor_b32 s9, exec_lo, s9
; %bb.261:                              ;   in Loop: Header=BB0_241 Depth=1
	v_add_co_u32 v8, vcc_lo, v8, v12
	v_add_co_ci_u32_e32 v9, vcc_lo, v9, v11, vcc_lo
; %bb.262:                              ;   in Loop: Header=BB0_241 Depth=1
	s_and_not1_saveexec_b32 s9, s9
	s_cbranch_execz .LBB0_239
; %bb.263:                              ;   in Loop: Header=BB0_241 Depth=1
	s_delay_alu instid0(VALU_DEP_2) | instskip(NEXT) | instid1(VALU_DEP_2)
	v_add_co_u32 v8, vcc_lo, v13, v8
	v_add_co_ci_u32_e32 v9, vcc_lo, v14, v9, vcc_lo
	s_branch .LBB0_239
.LBB0_264:
	s_or_b32 exec_lo, exec_lo, s6
	s_waitcnt lgkmcnt(0)
	v_add_co_u32 v4, vcc_lo, v2, v0
	v_add_co_ci_u32_e32 v5, vcc_lo, v3, v1, vcc_lo
	s_mov_b32 s1, -1
	s_delay_alu instid0(VALU_DEP_2) | instskip(NEXT) | instid1(VALU_DEP_2)
	v_add_co_u32 v6, vcc_lo, v4, -1
	v_add_co_ci_u32_e32 v7, vcc_lo, 0, v5, vcc_lo
	v_cmp_lt_u64_e32 vcc_lo, v[4:5], v[2:3]
	s_mov_b32 s0, 0
	v_lshlrev_b32_e32 v9, 2, v10
	s_mov_b32 s6, exec_lo
	v_dual_cndmask_b32 v5, v5, v7 :: v_dual_cndmask_b32 v4, v4, v6
	s_delay_alu instid0(VALU_DEP_1) | instskip(NEXT) | instid1(VALU_DEP_2)
	v_add_co_u32 v6, vcc_lo, v4, -1
	v_add_co_ci_u32_e32 v7, vcc_lo, 0, v5, vcc_lo
	v_cmp_lt_u64_e32 vcc_lo, s[0:1], v[4:5]
	s_delay_alu instid0(VALU_DEP_2) | instskip(NEXT) | instid1(VALU_DEP_1)
	v_dual_cndmask_b32 v5, v5, v7 :: v_dual_cndmask_b32 v4, v4, v6
	v_add_co_u32 v6, vcc_lo, v4, -1
	s_delay_alu instid0(VALU_DEP_2) | instskip(SKIP_1) | instid1(VALU_DEP_2)
	v_add_co_ci_u32_e32 v7, vcc_lo, 0, v5, vcc_lo
	v_cmp_lt_u64_e32 vcc_lo, s[0:1], v[4:5]
	v_dual_cndmask_b32 v5, v5, v7 :: v_dual_cndmask_b32 v4, v4, v6
	v_or3_b32 v6, v20, v9, 0x20000
	v_mov_b32_e32 v9, 0
	global_store_b32 v6, v8, s[4:5]
	v_cmpx_ne_u64_e32 0, v[4:5]
	s_cbranch_execz .LBB0_291
; %bb.265:
	s_mov_b32 s2, 0x10001
	s_mov_b32 s3, 0xfffeffff
	s_movk_i32 s7, 0xffc0
	v_cmp_lt_u64_e32 vcc_lo, s[2:3], v[4:5]
	v_cmp_gt_u64_e64 s0, s[2:3], v[4:5]
	s_mov_b64 s[2:3], 60
	v_mov_b32_e32 v9, 0
	v_mov_b32_e32 v10, 0
	v_cndmask_b32_e32 v12, 0x10001, v4, vcc_lo
	v_cndmask_b32_e32 v11, 0xfffeffff, v5, vcc_lo
	v_cndmask_b32_e64 v5, 0xfffeffff, v5, s0
	v_cndmask_b32_e64 v4, 0x10001, v4, s0
	s_mov_b32 s0, 1
	v_add_co_u32 v13, vcc_lo, v12, -1
	v_not_b32_e32 v7, v11
	v_not_b32_e32 v6, v12
	v_add_co_ci_u32_e32 v14, vcc_lo, 0, v11, vcc_lo
	s_branch .LBB0_268
.LBB0_266:                              ;   in Loop: Header=BB0_268 Depth=1
	s_or_b32 exec_lo, exec_lo, s9
.LBB0_267:                              ;   in Loop: Header=BB0_268 Depth=1
	s_delay_alu instid0(SALU_CYCLE_1)
	s_or_b32 exec_lo, exec_lo, s8
	v_add_co_u32 v15, vcc_lo, v8, -1
	v_add_co_ci_u32_e32 v10, vcc_lo, 0, v9, vcc_lo
	v_cmp_gt_u64_e32 vcc_lo, s[0:1], v[8:9]
	s_add_i32 s7, s7, 4
	s_add_u32 s2, s2, -4
	s_addc_u32 s3, s3, -1
	s_cmp_lg_u32 s7, 0
	v_dual_cndmask_b32 v10, v10, v9 :: v_dual_cndmask_b32 v9, v15, v8
	s_cbranch_scc0 .LBB0_291
.LBB0_268:                              ; =>This Inner Loop Header: Depth=1
	s_delay_alu instid0(VALU_DEP_1) | instskip(SKIP_1) | instid1(SALU_CYCLE_1)
	v_lshlrev_b64 v[15:16], 1, v[9:10]
	s_add_i32 s8, s2, 3
	v_lshrrev_b64 v[17:18], s8, v[4:5]
	s_mov_b32 s8, exec_lo
	s_delay_alu instid0(VALU_DEP_2) | instskip(NEXT) | instid1(VALU_DEP_3)
	v_add_co_u32 v8, vcc_lo, v15, -1
	v_add_co_ci_u32_e32 v18, vcc_lo, 0, v16, vcc_lo
	v_cmp_gt_i64_e32 vcc_lo, 0, v[9:10]
	s_delay_alu instid0(VALU_DEP_2) | instskip(NEXT) | instid1(VALU_DEP_4)
	v_dual_cndmask_b32 v9, v16, v18 :: v_dual_and_b32 v10, 1, v17
	v_cndmask_b32_e32 v8, v15, v8, vcc_lo
	s_delay_alu instid0(VALU_DEP_2)
	v_cmpx_eq_u32_e32 1, v10
	s_cbranch_execz .LBB0_274
; %bb.269:                              ;   in Loop: Header=BB0_268 Depth=1
	s_mov_b32 s9, exec_lo
	s_delay_alu instid0(VALU_DEP_2)
	v_cmpx_le_u64_e64 v[8:9], v[6:7]
	s_xor_b32 s9, exec_lo, s9
; %bb.270:                              ;   in Loop: Header=BB0_268 Depth=1
	v_add_co_u32 v8, vcc_lo, v8, v12
	v_add_co_ci_u32_e32 v9, vcc_lo, v9, v11, vcc_lo
; %bb.271:                              ;   in Loop: Header=BB0_268 Depth=1
	s_and_not1_saveexec_b32 s9, s9
; %bb.272:                              ;   in Loop: Header=BB0_268 Depth=1
	s_delay_alu instid0(VALU_DEP_2) | instskip(NEXT) | instid1(VALU_DEP_2)
	v_add_co_u32 v8, vcc_lo, v13, v8
	v_add_co_ci_u32_e32 v9, vcc_lo, v14, v9, vcc_lo
; %bb.273:                              ;   in Loop: Header=BB0_268 Depth=1
	s_or_b32 exec_lo, exec_lo, s9
.LBB0_274:                              ;   in Loop: Header=BB0_268 Depth=1
	s_delay_alu instid0(SALU_CYCLE_1) | instskip(NEXT) | instid1(VALU_DEP_2)
	s_or_b32 exec_lo, exec_lo, s8
	v_add_co_u32 v10, vcc_lo, v8, -1
	s_delay_alu instid0(VALU_DEP_2) | instskip(SKIP_2) | instid1(SALU_CYCLE_1)
	v_add_co_ci_u32_e32 v15, vcc_lo, 0, v9, vcc_lo
	v_cmp_gt_u64_e32 vcc_lo, s[0:1], v[8:9]
	s_add_i32 s8, s2, 2
	v_lshrrev_b64 v[17:18], s8, v[4:5]
	s_mov_b32 s8, exec_lo
	v_dual_cndmask_b32 v9, v15, v9 :: v_dual_cndmask_b32 v8, v10, v8
	s_delay_alu instid0(VALU_DEP_1) | instskip(NEXT) | instid1(VALU_DEP_1)
	v_lshlrev_b64 v[15:16], 1, v[8:9]
	v_add_co_u32 v10, vcc_lo, v15, -1
	s_delay_alu instid0(VALU_DEP_2) | instskip(SKIP_1) | instid1(VALU_DEP_3)
	v_add_co_ci_u32_e32 v18, vcc_lo, 0, v16, vcc_lo
	v_cmp_gt_i64_e32 vcc_lo, 0, v[8:9]
	v_dual_cndmask_b32 v8, v15, v10 :: v_dual_and_b32 v17, 1, v17
	s_delay_alu instid0(VALU_DEP_3) | instskip(NEXT) | instid1(VALU_DEP_2)
	v_cndmask_b32_e32 v9, v16, v18, vcc_lo
	v_cmpx_eq_u32_e32 1, v17
	s_cbranch_execz .LBB0_280
; %bb.275:                              ;   in Loop: Header=BB0_268 Depth=1
	s_mov_b32 s9, exec_lo
	s_delay_alu instid0(VALU_DEP_2)
	v_cmpx_le_u64_e64 v[8:9], v[6:7]
	s_xor_b32 s9, exec_lo, s9
; %bb.276:                              ;   in Loop: Header=BB0_268 Depth=1
	v_add_co_u32 v8, vcc_lo, v8, v12
	v_add_co_ci_u32_e32 v9, vcc_lo, v9, v11, vcc_lo
; %bb.277:                              ;   in Loop: Header=BB0_268 Depth=1
	s_and_not1_saveexec_b32 s9, s9
; %bb.278:                              ;   in Loop: Header=BB0_268 Depth=1
	s_delay_alu instid0(VALU_DEP_2) | instskip(NEXT) | instid1(VALU_DEP_2)
	v_add_co_u32 v8, vcc_lo, v13, v8
	v_add_co_ci_u32_e32 v9, vcc_lo, v14, v9, vcc_lo
; %bb.279:                              ;   in Loop: Header=BB0_268 Depth=1
	s_or_b32 exec_lo, exec_lo, s9
.LBB0_280:                              ;   in Loop: Header=BB0_268 Depth=1
	s_delay_alu instid0(SALU_CYCLE_1) | instskip(NEXT) | instid1(VALU_DEP_2)
	s_or_b32 exec_lo, exec_lo, s8
	v_add_co_u32 v10, vcc_lo, v8, -1
	s_delay_alu instid0(VALU_DEP_2) | instskip(SKIP_2) | instid1(SALU_CYCLE_1)
	v_add_co_ci_u32_e32 v15, vcc_lo, 0, v9, vcc_lo
	v_cmp_gt_u64_e32 vcc_lo, s[0:1], v[8:9]
	s_add_i32 s8, s2, 1
	v_lshrrev_b64 v[17:18], s8, v[4:5]
	s_mov_b32 s8, exec_lo
	v_dual_cndmask_b32 v9, v15, v9 :: v_dual_cndmask_b32 v8, v10, v8
	s_delay_alu instid0(VALU_DEP_1) | instskip(NEXT) | instid1(VALU_DEP_1)
	v_lshlrev_b64 v[15:16], 1, v[8:9]
	v_add_co_u32 v10, vcc_lo, v15, -1
	s_delay_alu instid0(VALU_DEP_2) | instskip(SKIP_1) | instid1(VALU_DEP_3)
	v_add_co_ci_u32_e32 v18, vcc_lo, 0, v16, vcc_lo
	v_cmp_gt_i64_e32 vcc_lo, 0, v[8:9]
	v_dual_cndmask_b32 v8, v15, v10 :: v_dual_and_b32 v17, 1, v17
	s_delay_alu instid0(VALU_DEP_3) | instskip(NEXT) | instid1(VALU_DEP_2)
	v_cndmask_b32_e32 v9, v16, v18, vcc_lo
	v_cmpx_eq_u32_e32 1, v17
	s_cbranch_execz .LBB0_286
; %bb.281:                              ;   in Loop: Header=BB0_268 Depth=1
	s_mov_b32 s9, exec_lo
	s_delay_alu instid0(VALU_DEP_2)
	v_cmpx_le_u64_e64 v[8:9], v[6:7]
	s_xor_b32 s9, exec_lo, s9
; %bb.282:                              ;   in Loop: Header=BB0_268 Depth=1
	v_add_co_u32 v8, vcc_lo, v8, v12
	v_add_co_ci_u32_e32 v9, vcc_lo, v9, v11, vcc_lo
; %bb.283:                              ;   in Loop: Header=BB0_268 Depth=1
	s_and_not1_saveexec_b32 s9, s9
; %bb.284:                              ;   in Loop: Header=BB0_268 Depth=1
	s_delay_alu instid0(VALU_DEP_2) | instskip(NEXT) | instid1(VALU_DEP_2)
	v_add_co_u32 v8, vcc_lo, v13, v8
	v_add_co_ci_u32_e32 v9, vcc_lo, v14, v9, vcc_lo
; %bb.285:                              ;   in Loop: Header=BB0_268 Depth=1
	s_or_b32 exec_lo, exec_lo, s9
.LBB0_286:                              ;   in Loop: Header=BB0_268 Depth=1
	s_delay_alu instid0(SALU_CYCLE_1) | instskip(NEXT) | instid1(VALU_DEP_2)
	s_or_b32 exec_lo, exec_lo, s8
	v_add_co_u32 v10, vcc_lo, v8, -1
	s_delay_alu instid0(VALU_DEP_2) | instskip(SKIP_3) | instid1(VALU_DEP_3)
	v_add_co_ci_u32_e32 v15, vcc_lo, 0, v9, vcc_lo
	v_cmp_gt_u64_e32 vcc_lo, s[0:1], v[8:9]
	v_lshrrev_b64 v[17:18], s2, v[4:5]
	s_mov_b32 s8, exec_lo
	v_dual_cndmask_b32 v9, v15, v9 :: v_dual_cndmask_b32 v8, v10, v8
	s_delay_alu instid0(VALU_DEP_1) | instskip(NEXT) | instid1(VALU_DEP_1)
	v_lshlrev_b64 v[15:16], 1, v[8:9]
	v_add_co_u32 v10, vcc_lo, v15, -1
	s_delay_alu instid0(VALU_DEP_2) | instskip(SKIP_1) | instid1(VALU_DEP_3)
	v_add_co_ci_u32_e32 v18, vcc_lo, 0, v16, vcc_lo
	v_cmp_gt_i64_e32 vcc_lo, 0, v[8:9]
	v_dual_cndmask_b32 v8, v15, v10 :: v_dual_and_b32 v17, 1, v17
	s_delay_alu instid0(VALU_DEP_3) | instskip(NEXT) | instid1(VALU_DEP_2)
	v_cndmask_b32_e32 v9, v16, v18, vcc_lo
	v_cmpx_eq_u32_e32 1, v17
	s_cbranch_execz .LBB0_267
; %bb.287:                              ;   in Loop: Header=BB0_268 Depth=1
	s_mov_b32 s9, exec_lo
	s_delay_alu instid0(VALU_DEP_2)
	v_cmpx_le_u64_e64 v[8:9], v[6:7]
	s_xor_b32 s9, exec_lo, s9
; %bb.288:                              ;   in Loop: Header=BB0_268 Depth=1
	v_add_co_u32 v8, vcc_lo, v8, v12
	v_add_co_ci_u32_e32 v9, vcc_lo, v9, v11, vcc_lo
; %bb.289:                              ;   in Loop: Header=BB0_268 Depth=1
	s_and_not1_saveexec_b32 s9, s9
	s_cbranch_execz .LBB0_266
; %bb.290:                              ;   in Loop: Header=BB0_268 Depth=1
	s_delay_alu instid0(VALU_DEP_2) | instskip(NEXT) | instid1(VALU_DEP_2)
	v_add_co_u32 v8, vcc_lo, v13, v8
	v_add_co_ci_u32_e32 v9, vcc_lo, v14, v9, vcc_lo
	s_branch .LBB0_266
.LBB0_291:
	s_or_b32 exec_lo, exec_lo, s6
	v_sub_co_u32 v4, vcc_lo, v0, v2
	v_sub_co_ci_u32_e32 v5, vcc_lo, v1, v3, vcc_lo
	s_mov_b32 s2, 1
	s_delay_alu instid0(VALU_DEP_2) | instskip(NEXT) | instid1(VALU_DEP_2)
	v_add_co_u32 v6, vcc_lo, v4, 1
	v_add_co_ci_u32_e32 v7, vcc_lo, -1, v5, vcc_lo
	v_cmp_lt_u64_e32 vcc_lo, v[0:1], v[2:3]
	s_mov_b32 s3, -1
	s_mov_b32 s0, 0
	s_mov_b32 s1, s3
	s_mov_b32 s6, exec_lo
	v_dual_cndmask_b32 v1, v5, v7 :: v_dual_cndmask_b32 v0, v4, v6
	v_or_b32_e32 v6, 3, v21
	s_delay_alu instid0(VALU_DEP_2) | instskip(NEXT) | instid1(VALU_DEP_3)
	v_add_co_u32 v2, vcc_lo, v0, -1
	v_add_co_ci_u32_e32 v3, vcc_lo, 0, v1, vcc_lo
	v_cmp_lt_u64_e32 vcc_lo, s[0:1], v[0:1]
	s_delay_alu instid0(VALU_DEP_4) | instskip(NEXT) | instid1(VALU_DEP_3)
	v_or_b32_e32 v4, v19, v6
	v_dual_cndmask_b32 v1, v1, v3 :: v_dual_cndmask_b32 v0, v0, v2
	s_delay_alu instid0(VALU_DEP_2)
	v_lshlrev_b32_e32 v2, 2, v4
	v_mov_b32_e32 v4, 0
	global_store_b32 v2, v9, s[4:5]
	v_cmpx_ne_u64_e32 0, v[0:1]
	s_cbranch_execz .LBB0_318
; %bb.292:
	s_mov_b32 s0, 0x10001
	s_mov_b32 s1, 0xfffeffff
	s_movk_i32 s7, 0xffc0
	v_cmp_lt_u64_e32 vcc_lo, s[0:1], v[0:1]
	v_cmp_gt_u64_e64 s0, s[0:1], v[0:1]
	v_mov_b32_e32 v4, 0
	v_dual_mov_b32 v5, 0 :: v_dual_cndmask_b32 v8, 0x10001, v0
	v_cndmask_b32_e32 v7, 0xfffeffff, v1, vcc_lo
	s_delay_alu instid0(VALU_DEP_4)
	v_cndmask_b32_e64 v1, 0xfffeffff, v1, s0
	v_cndmask_b32_e64 v0, 0x10001, v0, s0
	s_mov_b64 s[0:1], 60
	v_add_co_u32 v9, vcc_lo, v8, -1
	v_not_b32_e32 v3, v7
	v_not_b32_e32 v2, v8
	v_add_co_ci_u32_e32 v10, vcc_lo, 0, v7, vcc_lo
	s_branch .LBB0_295
.LBB0_293:                              ;   in Loop: Header=BB0_295 Depth=1
	s_or_b32 exec_lo, exec_lo, s9
.LBB0_294:                              ;   in Loop: Header=BB0_295 Depth=1
	s_delay_alu instid0(SALU_CYCLE_1)
	s_or_b32 exec_lo, exec_lo, s8
	v_add_co_u32 v11, vcc_lo, v4, -1
	v_add_co_ci_u32_e32 v12, vcc_lo, 0, v5, vcc_lo
	v_cmp_gt_u64_e32 vcc_lo, s[2:3], v[4:5]
	s_add_i32 s7, s7, 4
	s_add_u32 s0, s0, -4
	s_addc_u32 s1, s1, -1
	s_cmp_lg_u32 s7, 0
	v_dual_cndmask_b32 v5, v12, v5 :: v_dual_cndmask_b32 v4, v11, v4
	s_cbranch_scc0 .LBB0_318
.LBB0_295:                              ; =>This Inner Loop Header: Depth=1
	s_delay_alu instid0(VALU_DEP_1) | instskip(SKIP_1) | instid1(SALU_CYCLE_1)
	v_lshlrev_b64 v[11:12], 1, v[4:5]
	s_add_i32 s8, s0, 3
	v_lshrrev_b64 v[13:14], s8, v[0:1]
	s_mov_b32 s8, exec_lo
	s_delay_alu instid0(VALU_DEP_2) | instskip(NEXT) | instid1(VALU_DEP_3)
	v_add_co_u32 v14, vcc_lo, v11, -1
	v_add_co_ci_u32_e32 v15, vcc_lo, 0, v12, vcc_lo
	v_cmp_gt_i64_e32 vcc_lo, 0, v[4:5]
	s_delay_alu instid0(VALU_DEP_3) | instskip(NEXT) | instid1(VALU_DEP_3)
	v_dual_cndmask_b32 v4, v11, v14 :: v_dual_and_b32 v13, 1, v13
	v_cndmask_b32_e32 v5, v12, v15, vcc_lo
	s_delay_alu instid0(VALU_DEP_2)
	v_cmpx_eq_u32_e32 1, v13
	s_cbranch_execz .LBB0_301
; %bb.296:                              ;   in Loop: Header=BB0_295 Depth=1
	s_mov_b32 s9, exec_lo
	s_delay_alu instid0(VALU_DEP_2)
	v_cmpx_le_u64_e64 v[4:5], v[2:3]
	s_xor_b32 s9, exec_lo, s9
; %bb.297:                              ;   in Loop: Header=BB0_295 Depth=1
	v_add_co_u32 v4, vcc_lo, v4, v8
	v_add_co_ci_u32_e32 v5, vcc_lo, v5, v7, vcc_lo
; %bb.298:                              ;   in Loop: Header=BB0_295 Depth=1
	s_and_not1_saveexec_b32 s9, s9
; %bb.299:                              ;   in Loop: Header=BB0_295 Depth=1
	s_delay_alu instid0(VALU_DEP_2) | instskip(NEXT) | instid1(VALU_DEP_2)
	v_add_co_u32 v4, vcc_lo, v9, v4
	v_add_co_ci_u32_e32 v5, vcc_lo, v10, v5, vcc_lo
; %bb.300:                              ;   in Loop: Header=BB0_295 Depth=1
	s_or_b32 exec_lo, exec_lo, s9
.LBB0_301:                              ;   in Loop: Header=BB0_295 Depth=1
	s_delay_alu instid0(SALU_CYCLE_1) | instskip(NEXT) | instid1(VALU_DEP_2)
	s_or_b32 exec_lo, exec_lo, s8
	v_add_co_u32 v11, vcc_lo, v4, -1
	s_delay_alu instid0(VALU_DEP_2) | instskip(SKIP_2) | instid1(SALU_CYCLE_1)
	v_add_co_ci_u32_e32 v12, vcc_lo, 0, v5, vcc_lo
	v_cmp_gt_u64_e32 vcc_lo, s[2:3], v[4:5]
	s_add_i32 s8, s0, 2
	v_lshrrev_b64 v[13:14], s8, v[0:1]
	s_mov_b32 s8, exec_lo
	v_dual_cndmask_b32 v5, v12, v5 :: v_dual_cndmask_b32 v4, v11, v4
	s_delay_alu instid0(VALU_DEP_1) | instskip(NEXT) | instid1(VALU_DEP_1)
	v_lshlrev_b64 v[11:12], 1, v[4:5]
	v_add_co_u32 v14, vcc_lo, v11, -1
	s_delay_alu instid0(VALU_DEP_2) | instskip(SKIP_1) | instid1(VALU_DEP_3)
	v_add_co_ci_u32_e32 v15, vcc_lo, 0, v12, vcc_lo
	v_cmp_gt_i64_e32 vcc_lo, 0, v[4:5]
	v_dual_cndmask_b32 v4, v11, v14 :: v_dual_and_b32 v13, 1, v13
	s_delay_alu instid0(VALU_DEP_3) | instskip(NEXT) | instid1(VALU_DEP_2)
	v_cndmask_b32_e32 v5, v12, v15, vcc_lo
	v_cmpx_eq_u32_e32 1, v13
	s_cbranch_execz .LBB0_307
; %bb.302:                              ;   in Loop: Header=BB0_295 Depth=1
	s_mov_b32 s9, exec_lo
	s_delay_alu instid0(VALU_DEP_2)
	v_cmpx_le_u64_e64 v[4:5], v[2:3]
	s_xor_b32 s9, exec_lo, s9
; %bb.303:                              ;   in Loop: Header=BB0_295 Depth=1
	v_add_co_u32 v4, vcc_lo, v4, v8
	v_add_co_ci_u32_e32 v5, vcc_lo, v5, v7, vcc_lo
; %bb.304:                              ;   in Loop: Header=BB0_295 Depth=1
	s_and_not1_saveexec_b32 s9, s9
; %bb.305:                              ;   in Loop: Header=BB0_295 Depth=1
	s_delay_alu instid0(VALU_DEP_2) | instskip(NEXT) | instid1(VALU_DEP_2)
	v_add_co_u32 v4, vcc_lo, v9, v4
	v_add_co_ci_u32_e32 v5, vcc_lo, v10, v5, vcc_lo
; %bb.306:                              ;   in Loop: Header=BB0_295 Depth=1
	s_or_b32 exec_lo, exec_lo, s9
.LBB0_307:                              ;   in Loop: Header=BB0_295 Depth=1
	s_delay_alu instid0(SALU_CYCLE_1) | instskip(NEXT) | instid1(VALU_DEP_2)
	s_or_b32 exec_lo, exec_lo, s8
	v_add_co_u32 v11, vcc_lo, v4, -1
	s_delay_alu instid0(VALU_DEP_2) | instskip(SKIP_2) | instid1(SALU_CYCLE_1)
	v_add_co_ci_u32_e32 v12, vcc_lo, 0, v5, vcc_lo
	v_cmp_gt_u64_e32 vcc_lo, s[2:3], v[4:5]
	s_add_i32 s8, s0, 1
	v_lshrrev_b64 v[13:14], s8, v[0:1]
	s_mov_b32 s8, exec_lo
	v_dual_cndmask_b32 v5, v12, v5 :: v_dual_cndmask_b32 v4, v11, v4
	s_delay_alu instid0(VALU_DEP_1) | instskip(NEXT) | instid1(VALU_DEP_1)
	v_lshlrev_b64 v[11:12], 1, v[4:5]
	v_add_co_u32 v14, vcc_lo, v11, -1
	s_delay_alu instid0(VALU_DEP_2) | instskip(SKIP_1) | instid1(VALU_DEP_3)
	v_add_co_ci_u32_e32 v15, vcc_lo, 0, v12, vcc_lo
	v_cmp_gt_i64_e32 vcc_lo, 0, v[4:5]
	v_dual_cndmask_b32 v4, v11, v14 :: v_dual_and_b32 v13, 1, v13
	s_delay_alu instid0(VALU_DEP_3) | instskip(NEXT) | instid1(VALU_DEP_2)
	v_cndmask_b32_e32 v5, v12, v15, vcc_lo
	v_cmpx_eq_u32_e32 1, v13
	s_cbranch_execz .LBB0_313
; %bb.308:                              ;   in Loop: Header=BB0_295 Depth=1
	s_mov_b32 s9, exec_lo
	s_delay_alu instid0(VALU_DEP_2)
	v_cmpx_le_u64_e64 v[4:5], v[2:3]
	s_xor_b32 s9, exec_lo, s9
; %bb.309:                              ;   in Loop: Header=BB0_295 Depth=1
	v_add_co_u32 v4, vcc_lo, v4, v8
	v_add_co_ci_u32_e32 v5, vcc_lo, v5, v7, vcc_lo
; %bb.310:                              ;   in Loop: Header=BB0_295 Depth=1
	s_and_not1_saveexec_b32 s9, s9
; %bb.311:                              ;   in Loop: Header=BB0_295 Depth=1
	s_delay_alu instid0(VALU_DEP_2) | instskip(NEXT) | instid1(VALU_DEP_2)
	v_add_co_u32 v4, vcc_lo, v9, v4
	v_add_co_ci_u32_e32 v5, vcc_lo, v10, v5, vcc_lo
; %bb.312:                              ;   in Loop: Header=BB0_295 Depth=1
	s_or_b32 exec_lo, exec_lo, s9
.LBB0_313:                              ;   in Loop: Header=BB0_295 Depth=1
	s_delay_alu instid0(SALU_CYCLE_1) | instskip(NEXT) | instid1(VALU_DEP_2)
	s_or_b32 exec_lo, exec_lo, s8
	v_add_co_u32 v11, vcc_lo, v4, -1
	s_delay_alu instid0(VALU_DEP_2) | instskip(SKIP_3) | instid1(VALU_DEP_3)
	v_add_co_ci_u32_e32 v12, vcc_lo, 0, v5, vcc_lo
	v_cmp_gt_u64_e32 vcc_lo, s[2:3], v[4:5]
	v_lshrrev_b64 v[13:14], s0, v[0:1]
	s_mov_b32 s8, exec_lo
	v_dual_cndmask_b32 v5, v12, v5 :: v_dual_cndmask_b32 v4, v11, v4
	s_delay_alu instid0(VALU_DEP_1) | instskip(NEXT) | instid1(VALU_DEP_1)
	v_lshlrev_b64 v[11:12], 1, v[4:5]
	v_add_co_u32 v14, vcc_lo, v11, -1
	s_delay_alu instid0(VALU_DEP_2) | instskip(SKIP_1) | instid1(VALU_DEP_3)
	v_add_co_ci_u32_e32 v15, vcc_lo, 0, v12, vcc_lo
	v_cmp_gt_i64_e32 vcc_lo, 0, v[4:5]
	v_dual_cndmask_b32 v4, v11, v14 :: v_dual_and_b32 v13, 1, v13
	s_delay_alu instid0(VALU_DEP_3) | instskip(NEXT) | instid1(VALU_DEP_2)
	v_cndmask_b32_e32 v5, v12, v15, vcc_lo
	v_cmpx_eq_u32_e32 1, v13
	s_cbranch_execz .LBB0_294
; %bb.314:                              ;   in Loop: Header=BB0_295 Depth=1
	s_mov_b32 s9, exec_lo
	s_delay_alu instid0(VALU_DEP_2)
	v_cmpx_le_u64_e64 v[4:5], v[2:3]
	s_xor_b32 s9, exec_lo, s9
; %bb.315:                              ;   in Loop: Header=BB0_295 Depth=1
	v_add_co_u32 v4, vcc_lo, v4, v8
	v_add_co_ci_u32_e32 v5, vcc_lo, v5, v7, vcc_lo
; %bb.316:                              ;   in Loop: Header=BB0_295 Depth=1
	s_and_not1_saveexec_b32 s9, s9
	s_cbranch_execz .LBB0_293
; %bb.317:                              ;   in Loop: Header=BB0_295 Depth=1
	s_delay_alu instid0(VALU_DEP_2) | instskip(NEXT) | instid1(VALU_DEP_2)
	v_add_co_u32 v4, vcc_lo, v9, v4
	v_add_co_ci_u32_e32 v5, vcc_lo, v10, v5, vcc_lo
	s_branch .LBB0_293
.LBB0_318:
	s_or_b32 exec_lo, exec_lo, s6
	v_lshlrev_b32_e32 v0, 2, v6
	s_delay_alu instid0(VALU_DEP_1)
	v_or3_b32 v0, v20, v0, 0x20000
	global_store_b32 v0, v4, s[4:5]
	s_nop 0
	s_sendmsg sendmsg(MSG_DEALLOC_VGPRS)
	s_endpgm
	.section	.rodata,"a",@progbits
	.p2align	6, 0x0
	.amdhsa_kernel _Z17intt_3_64k_modcrtPjPKm
		.amdhsa_group_segment_fixed_size 4096
		.amdhsa_private_segment_fixed_size 0
		.amdhsa_kernarg_size 16
		.amdhsa_user_sgpr_count 15
		.amdhsa_user_sgpr_dispatch_ptr 0
		.amdhsa_user_sgpr_queue_ptr 0
		.amdhsa_user_sgpr_kernarg_segment_ptr 1
		.amdhsa_user_sgpr_dispatch_id 0
		.amdhsa_user_sgpr_private_segment_size 0
		.amdhsa_wavefront_size32 1
		.amdhsa_uses_dynamic_stack 0
		.amdhsa_enable_private_segment 0
		.amdhsa_system_sgpr_workgroup_id_x 1
		.amdhsa_system_sgpr_workgroup_id_y 0
		.amdhsa_system_sgpr_workgroup_id_z 0
		.amdhsa_system_sgpr_workgroup_info 0
		.amdhsa_system_vgpr_workitem_id 0
		.amdhsa_next_free_vgpr 34
		.amdhsa_next_free_sgpr 16
		.amdhsa_reserve_vcc 1
		.amdhsa_float_round_mode_32 0
		.amdhsa_float_round_mode_16_64 0
		.amdhsa_float_denorm_mode_32 3
		.amdhsa_float_denorm_mode_16_64 3
		.amdhsa_dx10_clamp 1
		.amdhsa_ieee_mode 1
		.amdhsa_fp16_overflow 0
		.amdhsa_workgroup_processor_mode 1
		.amdhsa_memory_ordered 1
		.amdhsa_forward_progress 0
		.amdhsa_shared_vgpr_count 0
		.amdhsa_exception_fp_ieee_invalid_op 0
		.amdhsa_exception_fp_denorm_src 0
		.amdhsa_exception_fp_ieee_div_zero 0
		.amdhsa_exception_fp_ieee_overflow 0
		.amdhsa_exception_fp_ieee_underflow 0
		.amdhsa_exception_fp_ieee_inexact 0
		.amdhsa_exception_int_div_zero 0
	.end_amdhsa_kernel
	.text
.Lfunc_end0:
	.size	_Z17intt_3_64k_modcrtPjPKm, .Lfunc_end0-_Z17intt_3_64k_modcrtPjPKm
                                        ; -- End function
	.section	.AMDGPU.csdata,"",@progbits
; Kernel info:
; codeLenInByte = 14200
; NumSgprs: 18
; NumVgprs: 34
; ScratchSize: 0
; MemoryBound: 0
; FloatMode: 240
; IeeeMode: 1
; LDSByteSize: 4096 bytes/workgroup (compile time only)
; SGPRBlocks: 2
; VGPRBlocks: 4
; NumSGPRsForWavesPerEU: 18
; NumVGPRsForWavesPerEU: 34
; Occupancy: 16
; WaveLimiterHint : 0
; COMPUTE_PGM_RSRC2:SCRATCH_EN: 0
; COMPUTE_PGM_RSRC2:USER_SGPR: 15
; COMPUTE_PGM_RSRC2:TRAP_HANDLER: 0
; COMPUTE_PGM_RSRC2:TGID_X_EN: 1
; COMPUTE_PGM_RSRC2:TGID_Y_EN: 0
; COMPUTE_PGM_RSRC2:TGID_Z_EN: 0
; COMPUTE_PGM_RSRC2:TIDIG_COMP_CNT: 0
	.text
	.p2alignl 7, 3214868480
	.fill 96, 4, 3214868480
	.type	__hip_cuid_c8d50ff3efa34c95,@object ; @__hip_cuid_c8d50ff3efa34c95
	.section	.bss,"aw",@nobits
	.globl	__hip_cuid_c8d50ff3efa34c95
__hip_cuid_c8d50ff3efa34c95:
	.byte	0                               ; 0x0
	.size	__hip_cuid_c8d50ff3efa34c95, 1

	.ident	"AMD clang version 19.0.0git (https://github.com/RadeonOpenCompute/llvm-project roc-6.4.0 25133 c7fe45cf4b819c5991fe208aaa96edf142730f1d)"
	.section	".note.GNU-stack","",@progbits
	.addrsig
	.addrsig_sym __hip_cuid_c8d50ff3efa34c95
	.amdgpu_metadata
---
amdhsa.kernels:
  - .args:
      - .actual_access:  write_only
        .address_space:  global
        .offset:         0
        .size:           8
        .value_kind:     global_buffer
      - .actual_access:  read_only
        .address_space:  global
        .offset:         8
        .size:           8
        .value_kind:     global_buffer
    .group_segment_fixed_size: 4096
    .kernarg_segment_align: 8
    .kernarg_segment_size: 16
    .language:       OpenCL C
    .language_version:
      - 2
      - 0
    .max_flat_workgroup_size: 1024
    .name:           _Z17intt_3_64k_modcrtPjPKm
    .private_segment_fixed_size: 0
    .sgpr_count:     18
    .sgpr_spill_count: 0
    .symbol:         _Z17intt_3_64k_modcrtPjPKm.kd
    .uniform_work_group_size: 1
    .uses_dynamic_stack: false
    .vgpr_count:     34
    .vgpr_spill_count: 0
    .wavefront_size: 32
    .workgroup_processor_mode: 1
amdhsa.target:   amdgcn-amd-amdhsa--gfx1100
amdhsa.version:
  - 1
  - 2
...

	.end_amdgpu_metadata
